;; amdgpu-corpus repo=ROCm/rocSOLVER kind=compiled arch=gfx1250 opt=O3
	.amdgcn_target "amdgcn-amd-amdhsa--gfx1250"
	.amdhsa_code_object_version 6
	.section	.text._ZN9rocsolver6v33100L10reset_infoIiiiEEvPT_T0_T1_S4_,"axG",@progbits,_ZN9rocsolver6v33100L10reset_infoIiiiEEvPT_T0_T1_S4_,comdat
	.globl	_ZN9rocsolver6v33100L10reset_infoIiiiEEvPT_T0_T1_S4_ ; -- Begin function _ZN9rocsolver6v33100L10reset_infoIiiiEEvPT_T0_T1_S4_
	.p2align	8
	.type	_ZN9rocsolver6v33100L10reset_infoIiiiEEvPT_T0_T1_S4_,@function
_ZN9rocsolver6v33100L10reset_infoIiiiEEvPT_T0_T1_S4_: ; @_ZN9rocsolver6v33100L10reset_infoIiiiEEvPT_T0_T1_S4_
; %bb.0:
	s_clause 0x1
	s_load_b32 s2, s[0:1], 0x24
	s_load_b96 s[4:6], s[0:1], 0x8
	s_bfe_u32 s3, ttmp6, 0x4000c
	s_and_b32 s7, ttmp6, 15
	s_add_co_i32 s3, s3, 1
	s_getreg_b32 s8, hwreg(HW_REG_IB_STS2, 6, 4)
	s_mul_i32 s3, ttmp9, s3
	s_delay_alu instid0(SALU_CYCLE_1) | instskip(SKIP_4) | instid1(SALU_CYCLE_1)
	s_add_co_i32 s7, s7, s3
	s_wait_kmcnt 0x0
	s_and_b32 s2, s2, 0xffff
	s_cmp_eq_u32 s8, 0
	s_cselect_b32 s3, ttmp9, s7
	v_mad_u32 v0, s3, s2, v0
	s_mov_b32 s2, exec_lo
	s_delay_alu instid0(VALU_DEP_1)
	v_cmpx_gt_i32_e64 s4, v0
	s_cbranch_execz .LBB0_2
; %bb.1:
	s_load_b64 s[0:1], s[0:1], 0x0
	v_mad_u32 v1, v0, s6, s5
	s_wait_kmcnt 0x0
	global_store_b32 v0, v1, s[0:1] scale_offset
.LBB0_2:
	s_endpgm
	.section	.rodata,"a",@progbits
	.p2align	6, 0x0
	.amdhsa_kernel _ZN9rocsolver6v33100L10reset_infoIiiiEEvPT_T0_T1_S4_
		.amdhsa_group_segment_fixed_size 0
		.amdhsa_private_segment_fixed_size 0
		.amdhsa_kernarg_size 280
		.amdhsa_user_sgpr_count 2
		.amdhsa_user_sgpr_dispatch_ptr 0
		.amdhsa_user_sgpr_queue_ptr 0
		.amdhsa_user_sgpr_kernarg_segment_ptr 1
		.amdhsa_user_sgpr_dispatch_id 0
		.amdhsa_user_sgpr_kernarg_preload_length 0
		.amdhsa_user_sgpr_kernarg_preload_offset 0
		.amdhsa_user_sgpr_private_segment_size 0
		.amdhsa_wavefront_size32 1
		.amdhsa_uses_dynamic_stack 0
		.amdhsa_enable_private_segment 0
		.amdhsa_system_sgpr_workgroup_id_x 1
		.amdhsa_system_sgpr_workgroup_id_y 0
		.amdhsa_system_sgpr_workgroup_id_z 0
		.amdhsa_system_sgpr_workgroup_info 0
		.amdhsa_system_vgpr_workitem_id 0
		.amdhsa_next_free_vgpr 2
		.amdhsa_next_free_sgpr 9
		.amdhsa_named_barrier_count 0
		.amdhsa_reserve_vcc 0
		.amdhsa_float_round_mode_32 0
		.amdhsa_float_round_mode_16_64 0
		.amdhsa_float_denorm_mode_32 3
		.amdhsa_float_denorm_mode_16_64 3
		.amdhsa_fp16_overflow 0
		.amdhsa_memory_ordered 1
		.amdhsa_forward_progress 1
		.amdhsa_inst_pref_size 2
		.amdhsa_round_robin_scheduling 0
		.amdhsa_exception_fp_ieee_invalid_op 0
		.amdhsa_exception_fp_denorm_src 0
		.amdhsa_exception_fp_ieee_div_zero 0
		.amdhsa_exception_fp_ieee_overflow 0
		.amdhsa_exception_fp_ieee_underflow 0
		.amdhsa_exception_fp_ieee_inexact 0
		.amdhsa_exception_int_div_zero 0
	.end_amdhsa_kernel
	.section	.text._ZN9rocsolver6v33100L10reset_infoIiiiEEvPT_T0_T1_S4_,"axG",@progbits,_ZN9rocsolver6v33100L10reset_infoIiiiEEvPT_T0_T1_S4_,comdat
.Lfunc_end0:
	.size	_ZN9rocsolver6v33100L10reset_infoIiiiEEvPT_T0_T1_S4_, .Lfunc_end0-_ZN9rocsolver6v33100L10reset_infoIiiiEEvPT_T0_T1_S4_
                                        ; -- End function
	.set _ZN9rocsolver6v33100L10reset_infoIiiiEEvPT_T0_T1_S4_.num_vgpr, 2
	.set _ZN9rocsolver6v33100L10reset_infoIiiiEEvPT_T0_T1_S4_.num_agpr, 0
	.set _ZN9rocsolver6v33100L10reset_infoIiiiEEvPT_T0_T1_S4_.numbered_sgpr, 9
	.set _ZN9rocsolver6v33100L10reset_infoIiiiEEvPT_T0_T1_S4_.num_named_barrier, 0
	.set _ZN9rocsolver6v33100L10reset_infoIiiiEEvPT_T0_T1_S4_.private_seg_size, 0
	.set _ZN9rocsolver6v33100L10reset_infoIiiiEEvPT_T0_T1_S4_.uses_vcc, 0
	.set _ZN9rocsolver6v33100L10reset_infoIiiiEEvPT_T0_T1_S4_.uses_flat_scratch, 0
	.set _ZN9rocsolver6v33100L10reset_infoIiiiEEvPT_T0_T1_S4_.has_dyn_sized_stack, 0
	.set _ZN9rocsolver6v33100L10reset_infoIiiiEEvPT_T0_T1_S4_.has_recursion, 0
	.set _ZN9rocsolver6v33100L10reset_infoIiiiEEvPT_T0_T1_S4_.has_indirect_call, 0
	.section	.AMDGPU.csdata,"",@progbits
; Kernel info:
; codeLenInByte = 136
; TotalNumSgprs: 9
; NumVgprs: 2
; ScratchSize: 0
; MemoryBound: 0
; FloatMode: 240
; IeeeMode: 1
; LDSByteSize: 0 bytes/workgroup (compile time only)
; SGPRBlocks: 0
; VGPRBlocks: 0
; NumSGPRsForWavesPerEU: 9
; NumVGPRsForWavesPerEU: 2
; NamedBarCnt: 0
; Occupancy: 16
; WaveLimiterHint : 0
; COMPUTE_PGM_RSRC2:SCRATCH_EN: 0
; COMPUTE_PGM_RSRC2:USER_SGPR: 2
; COMPUTE_PGM_RSRC2:TRAP_HANDLER: 0
; COMPUTE_PGM_RSRC2:TGID_X_EN: 1
; COMPUTE_PGM_RSRC2:TGID_Y_EN: 0
; COMPUTE_PGM_RSRC2:TGID_Z_EN: 0
; COMPUTE_PGM_RSRC2:TIDIG_COMP_CNT: 0
	.section	.text._ZN9rocsolver6v33100L12stein_kernelIffPfEEviPT0_lS4_lPiS4_lS5_lS5_lT1_iilS5_lS5_S4_S5_S3_S3_,"axG",@progbits,_ZN9rocsolver6v33100L12stein_kernelIffPfEEviPT0_lS4_lPiS4_lS5_lS5_lT1_iilS5_lS5_S4_S5_S3_S3_,comdat
	.globl	_ZN9rocsolver6v33100L12stein_kernelIffPfEEviPT0_lS4_lPiS4_lS5_lS5_lT1_iilS5_lS5_S4_S5_S3_S3_ ; -- Begin function _ZN9rocsolver6v33100L12stein_kernelIffPfEEviPT0_lS4_lPiS4_lS5_lS5_lT1_iilS5_lS5_S4_S5_S3_S3_
	.p2align	8
	.type	_ZN9rocsolver6v33100L12stein_kernelIffPfEEviPT0_lS4_lPiS4_lS5_lS5_lT1_iilS5_lS5_S4_S5_S3_S3_,@function
_ZN9rocsolver6v33100L12stein_kernelIffPfEEviPT0_lS4_lPiS4_lS5_lS5_lT1_iilS5_lS5_S4_S5_S3_S3_: ; @_ZN9rocsolver6v33100L12stein_kernelIffPfEEviPT0_lS4_lPiS4_lS5_lS5_lT1_iilS5_lS5_S4_S5_S3_S3_
; %bb.0:
	s_load_b512 s[4:19], s[0:1], 0x8
	s_bfe_u32 s2, ttmp6, 0x40010
	s_bfe_u32 s3, ttmp6, 0x40004
	s_add_co_i32 s2, s2, 1
	s_getreg_b32 s20, hwreg(HW_REG_IB_STS2, 6, 4)
	s_mul_i32 s2, ttmp7, s2
	s_delay_alu instid0(SALU_CYCLE_1) | instskip(SKIP_2) | instid1(SALU_CYCLE_1)
	s_add_co_i32 s3, s3, s2
	s_cmp_eq_u32 s20, 0
	s_cselect_b32 s48, ttmp7, s3
	s_ashr_i32 s49, s48, 31
	s_delay_alu instid0(SALU_CYCLE_1)
	s_lshl_b64 s[34:35], s[48:49], 2
	s_wait_kmcnt 0x0
	s_add_nc_u64 s[2:3], s[12:13], s[34:35]
	s_load_b32 s44, s[2:3], 0x0
	s_wait_kmcnt 0x0
	s_cmp_lt_i32 s44, 1
	s_cbranch_scc1 .LBB1_278
; %bb.1:
	s_clause 0x1
	s_load_b256 s[36:43], s[0:1], 0x70
	s_load_b128 s[28:31], s[0:1], 0x90
	s_mov_b64 s[46:47], 0
	s_wait_kmcnt 0x0
	s_cmp_eq_u64 s[38:39], 0
	s_cbranch_scc1 .LBB1_3
; %bb.2:
	s_mul_u64 s[2:3], s[40:41], s[48:49]
	s_delay_alu instid0(SALU_CYCLE_1) | instskip(NEXT) | instid1(SALU_CYCLE_1)
	s_lshl_b64 s[2:3], s[2:3], 2
	s_add_nc_u64 s[46:47], s[38:39], s[2:3]
.LBB1_3:
	v_cmp_eq_u32_e64 s2, 0, v0
	s_and_saveexec_b32 s3, s2
; %bb.4:
	v_mov_b32_e32 v1, 0
	ds_store_b32 v1, v1
; %bb.5:
	s_or_b32 exec_lo, exec_lo, s3
	v_cmp_gt_u32_e32 vcc_lo, s44, v0
	s_cmp_lg_u64 s[46:47], 0
	s_cselect_b32 s25, -1, 0
	s_delay_alu instid0(SALU_CYCLE_1) | instskip(NEXT) | instid1(SALU_CYCLE_1)
	s_and_b32 s12, vcc_lo, s25
	s_and_saveexec_b32 s3, s12
	s_cbranch_execz .LBB1_13
; %bb.6:
	v_xad_u32 v1, v0, -1, s44
	v_mov_b32_e32 v2, v0
	s_mov_b32 s13, -1
	s_mov_b32 s12, exec_lo
	s_delay_alu instid0(VALU_DEP_2)
	v_cmpx_lt_u32_e32 0xff, v1
	s_cbranch_execz .LBB1_10
; %bb.7:
	v_dual_lshrrev_b32 v1, 8, v1 :: v_dual_mov_b32 v3, 0
	s_mov_b32 s13, 0
	s_delay_alu instid0(VALU_DEP_1) | instskip(SKIP_1) | instid1(VALU_DEP_2)
	v_add_nc_u32_e32 v6, 1, v1
	v_or_b32_e32 v1, 0x100, v0
	v_and_b32_e32 v7, 0x1fffffe, v6
	s_delay_alu instid0(VALU_DEP_2) | instskip(NEXT) | instid1(VALU_DEP_2)
	v_mov_b64_e32 v[4:5], v[0:1]
	v_mov_b32_e32 v8, v7
.LBB1_8:                                ; =>This Inner Loop Header: Depth=1
	s_delay_alu instid0(VALU_DEP_1) | instskip(SKIP_1) | instid1(VALU_DEP_2)
	v_dual_mov_b32 v2, v4 :: v_dual_add_nc_u32 v8, -2, v8
	v_add_nc_u32_e32 v4, 0x200, v4
	v_lshl_add_u64 v[10:11], v[2:3], 2, s[46:47]
	v_dual_mov_b32 v2, v5 :: v_dual_add_nc_u32 v5, 0x200, v5
	s_delay_alu instid0(VALU_DEP_4) | instskip(NEXT) | instid1(VALU_DEP_2)
	v_cmp_eq_u32_e32 vcc_lo, 0, v8
	v_lshl_add_u64 v[12:13], v[2:3], 2, s[46:47]
	s_clause 0x1
	global_store_b32 v[10:11], v3, off
	global_store_b32 v[12:13], v3, off
	s_or_b32 s13, vcc_lo, s13
	s_wait_xcnt 0x0
	s_and_not1_b32 exec_lo, exec_lo, s13
	s_cbranch_execnz .LBB1_8
; %bb.9:
	s_or_b32 exec_lo, exec_lo, s13
	v_cmp_ne_u32_e32 vcc_lo, v6, v7
	v_lshl_or_b32 v2, v7, 8, v0
	s_or_not1_b32 s13, vcc_lo, exec_lo
.LBB1_10:
	s_or_b32 exec_lo, exec_lo, s12
	s_delay_alu instid0(SALU_CYCLE_1)
	s_and_b32 exec_lo, exec_lo, s13
	s_cbranch_execz .LBB1_13
; %bb.11:
	v_mov_b32_e32 v3, 0
	s_mov_b32 s12, 0
	s_delay_alu instid0(VALU_DEP_1)
	v_lshl_add_u64 v[4:5], v[2:3], 2, s[46:47]
.LBB1_12:                               ; =>This Inner Loop Header: Depth=1
	v_add_nc_u32_e32 v2, 0x100, v2
	global_store_b32 v[4:5], v3, off
	s_wait_xcnt 0x0
	v_add_nc_u64_e32 v[4:5], 0x400, v[4:5]
	v_cmp_le_i32_e32 vcc_lo, s44, v2
	s_or_b32 s12, vcc_lo, s12
	s_delay_alu instid0(SALU_CYCLE_1)
	s_and_not1_b32 exec_lo, exec_lo, s12
	s_cbranch_execnz .LBB1_12
.LBB1_13:
                                        ; implicit-def: $vgpr44 : SGPR spill to VGPR lane
	v_writelane_b32 v44, s36, 0
	v_writelane_b32 v44, s37, 1
	;; [unrolled: 1-line block ×8, first 2 shown]
	s_or_b32 exec_lo, exec_lo, s3
	s_load_b256 s[36:43], s[0:1], 0x48
	v_mov_b32_e32 v1, s44
	s_wait_kmcnt 0x0
	s_mul_u64 s[12:13], s[36:37], s[48:49]
	s_delay_alu instid0(SALU_CYCLE_1) | instskip(NEXT) | instid1(SALU_CYCLE_1)
	s_lshl_b64 s[12:13], s[12:13], 2
	s_add_nc_u64 s[18:19], s[18:19], s[12:13]
	global_load_b32 v14, v1, s[18:19] offset:-4 scale_offset
	s_wait_loadcnt 0x0
	v_cmp_gt_i32_e32 vcc_lo, 1, v14
	s_cbranch_vccnz .LBB1_276
; %bb.14:
	s_clause 0x2
	s_load_b64 s[22:23], s[0:1], 0xa0
	s_load_b32 s24, s[0:1], 0x0
	s_load_b64 s[12:13], s[0:1], 0x68
	v_readlane_b32 s52, v44, 0
	s_mul_u64 s[10:11], s[10:11], s[48:49]
	v_readlane_b32 s53, v44, 1
	s_mul_u64 s[20:21], s[40:41], s[48:49]
	s_lshl_b64 s[10:11], s[10:11], 2
	s_lshl_b64 s[50:51], s[20:21], 2
	s_add_nc_u64 s[20:21], s[8:9], s[10:11]
	s_mul_u64 s[6:7], s[6:7], s[48:49]
	s_mul_u64 s[26:27], s[52:53], s[48:49]
	;; [unrolled: 1-line block ×3, first 2 shown]
	s_lshl_b64 s[6:7], s[6:7], 2
	s_lshl_b64 s[26:27], s[26:27], 2
	;; [unrolled: 1-line block ×3, first 2 shown]
	s_add_nc_u64 s[16:17], s[4:5], s[6:7]
	s_add_nc_u64 s[6:7], s[42:43], s[26:27]
	s_and_b32 s33, s2, s25
	s_mov_b32 s37, 0
	s_wait_kmcnt 0x0
	v_div_scale_f32 v1, null, s23, s23, 1.0
	v_div_scale_f32 v5, vcc_lo, 1.0, s23, 1.0
	s_mul_i32 s8, s24, 5
	v_rcp_f32_e32 v3, v1
	v_nop
	v_xor_b32_e32 v1, 0x80000000, v1
	v_max_num_f32_e64 v7, s22, s22
	s_ashr_i32 s9, s8, 31
	s_mul_i32 s42, s24, 3
	s_mul_u64 s[8:9], s[8:9], s[48:49]
	s_ashr_i32 s25, s24, 31
	v_fma_f32 v4, v1, v3, 1.0
	v_lshlrev_b32_e32 v2, 2, v0
	s_lshl_b64 s[8:9], s[8:9], 2
	s_ashr_i32 s11, s12, 31
	s_mov_b32 s10, s12
	s_delay_alu instid0(VALU_DEP_1) | instskip(SKIP_3) | instid1(VALU_DEP_1)
	v_dual_fmac_f32 v3, v4, v3 :: v_dual_add_nc_u32 v28, 8, v2
	s_ashr_i32 s43, s42, 31
	s_mul_u64 s[26:27], s[24:25], s[48:49]
	s_add_nc_u64 s[48:49], s[28:29], s[8:9]
	v_mul_f32_e32 v4, v5, v3
	s_lshl_b64 s[10:11], s[10:11], 2
	s_lshl_b64 s[66:67], s[42:43], 2
	v_readlane_b32 s54, v44, 2
	v_readlane_b32 s55, v44, 3
	v_fma_f32 v6, v1, v4, v5
	s_mov_b32 s45, s37
	s_add_nc_u64 s[54:55], s[6:7], s[10:11]
	s_add_nc_u64 s[6:7], s[8:9], s[66:67]
	s_lshl_b64 s[52:53], s[44:45], 2
	v_dual_fmac_f32 v4, v6, v3 :: v_dual_add_nc_u32 v6, s24, v0
	s_lshl_b64 s[60:61], s[24:25], 3
	s_add_nc_u64 s[6:7], s[28:29], s[6:7]
	s_add_nc_u64 s[14:15], s[14:15], s[40:41]
	s_delay_alu instid0(VALU_DEP_1)
	v_fmac_f32_e32 v5, v1, v4
	s_add_nc_u64 s[38:39], s[38:39], s[50:51]
	s_add_nc_u64 s[40:41], s[18:19], s[52:53]
	s_sub_nc_u64 s[50:51], 0, s[60:61]
	s_add_nc_u64 s[52:53], s[48:49], s[66:67]
	v_div_fmas_f32 v3, v5, v3, v4
	v_readlane_b32 s56, v44, 4
	v_readlane_b32 s57, v44, 5
	v_readlane_b32 s58, v44, 6
	v_readlane_b32 s59, v44, 7
	v_div_fixup_f32 v4, v3, s23, 1.0
	v_dual_max_num_f32 v30, 0, v7 :: v_dual_ashrrev_i32 v7, 31, v6
	v_mov_b32_e32 v3, 0
	s_lshl_b64 s[58:59], s[24:25], 2
	s_add_nc_u64 s[56:57], s[52:53], s[50:51]
	v_cmp_gt_u32_e64 s0, 0x80, v0
	v_lshl_add_u64 v[12:13], v[6:7], 2, s[48:49]
	v_mov_b64_e32 v[6:7], v[2:3]
	v_add_nc_u64_e32 v[8:9], s[48:49], v[2:3]
	v_add_nc_u64_e32 v[10:11], s[6:7], v[2:3]
	v_cmp_gt_u32_e64 s1, 64, v0
	v_add_nc_u64_e32 v[12:13], 4, v[12:13]
	v_cmp_gt_u32_e64 s3, 32, v0
	v_cmp_gt_i32_e64 s4, s24, v0
	v_not_b32_e32 v29, v0
	v_or_b32_e32 v1, 0x100, v0
	v_dual_mov_b32 v5, v4 :: v_dual_mov_b32 v31, 1.0
	v_dual_mov_b32 v32, 1 :: v_dual_mov_b32 v33, 8
	s_lshl_b64 s[26:27], s[26:27], 2
	s_add_nc_u64 s[58:59], s[56:57], s[58:59]
	s_add_nc_u64 s[30:31], s[30:31], s[26:27]
	s_add_nc_u64 s[60:61], s[58:59], s[60:61]
	s_add_nc_u64 s[62:63], s[20:21], 4
	s_add_nc_u64 s[64:65], s[16:17], 4
	s_lshl_b32 s25, s24, 1
	s_add_nc_u64 s[28:29], s[6:7], 8
	s_mov_b64 s[66:67], 0x3fb999999999999a
	s_mov_b64 s[68:69], 0x41dfffffff800000
	s_add_nc_u64 s[70:71], s[48:49], 4
	s_mov_b32 s72, s37
	s_mov_b32 s43, 0
                                        ; implicit-def: $sgpr11
                                        ; implicit-def: $vgpr35
                                        ; implicit-def: $sgpr75
                                        ; implicit-def: $sgpr100
                                        ; implicit-def: $sgpr45
	s_branch .LBB1_17
.LBB1_15:                               ;   in Loop: Header=BB1_17 Depth=1
	global_load_b32 v14, v3, s[40:41] offset:-4
	s_mov_b32 s43, s36
	s_mov_b32 s11, s89
.LBB1_16:                               ;   in Loop: Header=BB1_17 Depth=1
	s_add_co_i32 s72, s72, 1
	s_wait_loadcnt 0x0
	v_cmp_ge_i32_e32 vcc_lo, s72, v14
	s_cbranch_vccnz .LBB1_276
.LBB1_17:                               ; =>This Loop Header: Depth=1
                                        ;     Child Loop BB1_22 Depth 2
                                        ;     Child Loop BB1_26 Depth 2
                                        ;       Child Loop BB1_36 Depth 3
                                        ;       Child Loop BB1_39 Depth 3
	;; [unrolled: 1-line block ×5, first 2 shown]
                                        ;         Child Loop BB1_111 Depth 4
                                        ;         Child Loop BB1_117 Depth 4
	;; [unrolled: 1-line block ×5, first 2 shown]
                                        ;           Child Loop BB1_137 Depth 5
                                        ;         Child Loop BB1_155 Depth 4
                                        ;           Child Loop BB1_156 Depth 5
                                        ;           Child Loop BB1_158 Depth 5
                                        ;         Child Loop BB1_163 Depth 4
                                        ;       Child Loop BB1_206 Depth 3
                                        ;       Child Loop BB1_245 Depth 3
	;; [unrolled: 1-line block ×5, first 2 shown]
	s_cmp_eq_u32 s72, 0
	s_wait_xcnt 0x0
	s_mov_b64 s[6:7], 0
	s_mov_b32 s74, s37
	s_cbranch_scc1 .LBB1_19
; %bb.18:                               ;   in Loop: Header=BB1_17 Depth=1
	v_mov_b32_e32 v2, s72
	s_mov_b32 s73, s37
	s_delay_alu instid0(SALU_CYCLE_1)
	s_mov_b64 s[6:7], s[72:73]
	global_load_b32 v2, v2, s[38:39] offset:-4 scale_offset
	s_wait_loadcnt 0x0
	v_readfirstlane_b32 s74, v2
.LBB1_19:                               ;   in Loop: Header=BB1_17 Depth=1
	s_lshl_b64 s[6:7], s[6:7], 2
	s_delay_alu instid0(VALU_DEP_1)
	s_not_b32 s5, s74
	s_add_nc_u64 s[6:7], s[38:39], s[6:7]
	global_load_b32 v2, v3, s[6:7]
	s_wait_loadcnt 0x0
	v_readfirstlane_b32 s76, v2
	v_subrev_nc_u32_e32 v34, s74, v2
	s_add_co_i32 s78, s5, s76
	s_delay_alu instid0(SALU_CYCLE_1) | instskip(SKIP_1) | instid1(SALU_CYCLE_1)
	s_cmp_lt_i32 s78, 1
	s_cselect_b32 s73, -1, 0
	s_and_b32 vcc_lo, exec_lo, s73
	s_cbranch_vccnz .LBB1_24
; %bb.20:                               ;   in Loop: Header=BB1_17 Depth=1
	v_dual_mov_b32 v2, s76 :: v_dual_mov_b32 v15, s74
	s_add_co_i32 s5, s76, -2
	s_clause 0x1
	global_load_b32 v16, v2, s[16:17] offset:-4 scale_offset
	global_load_b32 v18, v15, s[16:17] scale_offset
	s_clause 0x1
	global_load_b32 v2, v2, s[20:21] offset:-8 scale_offset
	global_load_b32 v15, v15, s[20:21] scale_offset
	s_wait_loadcnt 0x3
	v_and_b32_e32 v17, 0x7fffffff, v16
	s_wait_loadcnt 0x2
	v_and_b32_e32 v16, 0x7fffffff, v18
	;; [unrolled: 2-line block ×4, first 2 shown]
	v_readfirstlane_b32 s10, v15
	s_delay_alu instid0(VALU_DEP_2) | instskip(NEXT) | instid1(VALU_DEP_1)
	v_pk_add_f32 v[16:17], v[16:17], v[18:19]
	v_readfirstlane_b32 s6, v16
	s_delay_alu instid0(VALU_DEP_2)
	v_readfirstlane_b32 s7, v17
	s_cmp_lt_f32 s6, s7
	s_cselect_b32 s45, s7, s6
	s_cmp_ge_i32 s74, s5
	s_cbranch_scc1 .LBB1_23
; %bb.21:                               ;   in Loop: Header=BB1_17 Depth=1
	s_ashr_i32 s75, s74, 31
	s_mov_b32 s12, s74
	s_lshl_b64 s[8:9], s[74:75], 2
	s_delay_alu instid0(SALU_CYCLE_1)
	s_add_nc_u64 s[6:7], s[62:63], s[8:9]
	s_add_nc_u64 s[8:9], s[64:65], s[8:9]
.LBB1_22:                               ;   Parent Loop BB1_17 Depth=1
                                        ; =>  This Inner Loop Header: Depth=2
	s_clause 0x1
	global_load_b32 v2, v3, s[8:9]
	global_load_b32 v15, v3, s[6:7]
	s_and_b32 s27, s10, 0x7fffffff
	s_add_co_i32 s12, s12, 1
	s_wait_xcnt 0x0
	s_add_nc_u64 s[6:7], s[6:7], 4
	s_add_nc_u64 s[8:9], s[8:9], 4
	s_wait_loadcnt 0x1
	v_readfirstlane_b32 s26, v2
	s_wait_loadcnt 0x0
	v_readfirstlane_b32 s10, v15
	s_bitset0_b32 s26, 31
	s_delay_alu instid0(SALU_CYCLE_1) | instskip(SKIP_1) | instid1(SALU_CYCLE_2)
	s_add_f32 s26, s27, s26
	s_and_b32 s27, s10, 0x7fffffff
	s_add_f32 s26, s26, s27
	s_delay_alu instid0(SALU_CYCLE_3)
	s_cmp_lt_f32 s45, s26
	s_cselect_b32 s45, s26, s45
	s_cmp_lt_i32 s12, s5
	s_cbranch_scc1 .LBB1_22
.LBB1_23:                               ;   in Loop: Header=BB1_17 Depth=1
	v_cvt_f64_u32_e32 v[16:17], v34
	s_mul_f32 s75, s45, 0x3a83126f
	s_mov_b32 s100, s43
	s_delay_alu instid0(VALU_DEP_1) | instskip(SKIP_1) | instid1(VALU_DEP_2)
	v_div_scale_f64 v[18:19], null, v[16:17], v[16:17], s[66:67]
	v_div_scale_f64 v[24:25], vcc_lo, s[66:67], v[16:17], s[66:67]
	v_rcp_f64_e32 v[20:21], v[18:19]
	v_nop
	s_delay_alu instid0(TRANS32_DEP_1) | instskip(NEXT) | instid1(VALU_DEP_1)
	v_fma_f64 v[22:23], -v[18:19], v[20:21], 1.0
	v_fmac_f64_e32 v[20:21], v[20:21], v[22:23]
	s_delay_alu instid0(VALU_DEP_1) | instskip(NEXT) | instid1(VALU_DEP_1)
	v_fma_f64 v[22:23], -v[18:19], v[20:21], 1.0
	v_fmac_f64_e32 v[20:21], v[20:21], v[22:23]
	s_delay_alu instid0(VALU_DEP_1) | instskip(NEXT) | instid1(VALU_DEP_1)
	v_mul_f64_e32 v[22:23], v[24:25], v[20:21]
	v_fma_f64 v[18:19], -v[18:19], v[22:23], v[24:25]
	s_delay_alu instid0(VALU_DEP_1) | instskip(NEXT) | instid1(VALU_DEP_1)
	v_div_fmas_f64 v[18:19], v[18:19], v[20:21], v[22:23]
	v_div_fixup_f64 v[16:17], v[18:19], v[16:17], s[66:67]
	s_delay_alu instid0(VALU_DEP_1) | instskip(SKIP_2) | instid1(SALU_CYCLE_1)
	v_cmp_gt_f64_e32 vcc_lo, 0x10000000, v[16:17]
	s_and_b32 s5, vcc_lo, exec_lo
	s_cselect_b32 s5, 0x100, 0
	v_ldexp_f64 v[16:17], v[16:17], s5
	s_cselect_b32 s5, 0xffffff80, 0
	s_delay_alu instid0(VALU_DEP_1) | instskip(SKIP_1) | instid1(TRANS32_DEP_1)
	v_rsq_f64_e32 v[18:19], v[16:17]
	v_cmp_class_f64_e64 vcc_lo, v[16:17], 0x260
	v_mul_f64_e32 v[20:21], v[16:17], v[18:19]
	v_mul_f64_e32 v[18:19], 0.5, v[18:19]
	s_delay_alu instid0(VALU_DEP_1) | instskip(NEXT) | instid1(VALU_DEP_1)
	v_fma_f64 v[22:23], -v[18:19], v[20:21], 0.5
	v_fmac_f64_e32 v[20:21], v[20:21], v[22:23]
	v_fmac_f64_e32 v[18:19], v[18:19], v[22:23]
	s_delay_alu instid0(VALU_DEP_2) | instskip(NEXT) | instid1(VALU_DEP_1)
	v_fma_f64 v[22:23], -v[20:21], v[20:21], v[16:17]
	v_fmac_f64_e32 v[20:21], v[22:23], v[18:19]
	s_delay_alu instid0(VALU_DEP_1) | instskip(NEXT) | instid1(VALU_DEP_1)
	v_fma_f64 v[22:23], -v[20:21], v[20:21], v[16:17]
	v_fmac_f64_e32 v[20:21], v[22:23], v[18:19]
	s_delay_alu instid0(VALU_DEP_1) | instskip(NEXT) | instid1(VALU_DEP_1)
	v_ldexp_f64 v[18:19], v[20:21], s5
	v_dual_cndmask_b32 v17, v19, v17 :: v_dual_cndmask_b32 v16, v18, v16
	s_delay_alu instid0(VALU_DEP_1)
	v_cvt_f32_f64_e32 v35, v[16:17]
.LBB1_24:                               ;   in Loop: Header=BB1_17 Depth=1
	s_cmp_ge_i32 s43, s44
	s_cbranch_scc1 .LBB1_16
; %bb.25:                               ;   in Loop: Header=BB1_17 Depth=1
	s_wait_xcnt 0x1
	v_dual_add_nc_u32 v2, s76, v29 :: v_dual_add_nc_u32 v14, s74, v0
	v_cvt_f32_u32_e32 v17, v34
	s_ashr_i32 s77, s76, 31
	s_add_co_i32 s26, s78, s42
	s_delay_alu instid0(VALU_DEP_2)
	v_subrev_nc_u32_e32 v2, s74, v2
	s_lshl_b64 s[8:9], s[76:77], 2
	s_ashr_i32 s27, s26, 31
	s_add_nc_u64 s[80:81], s[16:17], s[8:9]
	s_lshl_b64 s[8:9], s[26:27], 2
	s_wait_xcnt 0x0
	v_dual_lshrrev_b32 v15, 8, v2 :: v_dual_mul_f32 v37, s45, v17
	s_mov_b32 s79, s37
	v_cmp_ge_i32_e64 s5, s78, v0
	v_cmp_gt_i32_e64 s6, s78, v0
	s_delay_alu instid0(VALU_DEP_3) | instskip(SKIP_3) | instid1(VALU_DEP_3)
	v_dual_add_nc_u32 v16, 1, v15 :: v_dual_ashrrev_i32 v15, 31, v14
	s_add_nc_u64 s[82:83], s[48:49], s[8:9]
	v_cmp_lt_u32_e64 s7, v0, v34
	v_cmp_lt_u32_e64 s8, 2, v34
	v_and_b32_e32 v36, 0x1fffffe, v16
	v_lshlrev_b64_e32 v[18:19], 2, v[14:15]
	v_cmp_lt_u32_e64 s9, 0xff, v2
	s_lshl_b64 s[26:27], s[78:79], 2
	s_add_co_i32 s77, s78, -1
	v_cmp_ne_u32_e64 s10, v16, v36
	v_lshl_or_b32 v14, v36, 8, v0
	s_add_nc_u64 s[84:85], s[30:31], s[26:27]
	v_add_nc_u64_e32 v[16:17], s[16:17], v[18:19]
	v_add_nc_u64_e32 v[18:19], s[20:21], v[18:19]
	s_add_nc_u64 s[86:87], s[52:53], s[26:27]
	s_sub_co_i32 s79, s76, s74
	s_mov_b32 s102, 0
	s_sub_co_i32 s101, 0, s74
	s_mul_i32 s103, s13, s43
	s_mov_b32 s88, s43
.LBB1_26:                               ;   Parent Loop BB1_17 Depth=1
                                        ; =>  This Loop Header: Depth=2
                                        ;       Child Loop BB1_36 Depth 3
                                        ;       Child Loop BB1_39 Depth 3
	;; [unrolled: 1-line block ×5, first 2 shown]
                                        ;         Child Loop BB1_111 Depth 4
                                        ;         Child Loop BB1_117 Depth 4
	;; [unrolled: 1-line block ×5, first 2 shown]
                                        ;           Child Loop BB1_137 Depth 5
                                        ;         Child Loop BB1_155 Depth 4
                                        ;           Child Loop BB1_156 Depth 5
                                        ;           Child Loop BB1_158 Depth 5
                                        ;         Child Loop BB1_163 Depth 4
                                        ;       Child Loop BB1_206 Depth 3
                                        ;       Child Loop BB1_245 Depth 3
	;; [unrolled: 1-line block ×5, first 2 shown]
	s_delay_alu instid0(SALU_CYCLE_1) | instskip(SKIP_4) | instid1(VALU_DEP_1)
	v_mov_b32_e32 v2, s88
	s_mov_b32 s12, -1
	global_load_b32 v2, v2, s[18:19] scale_offset
	s_wait_loadcnt 0x0
	v_add_nc_u32_e32 v2, -1, v2
	v_cmp_ne_u32_e32 vcc_lo, s72, v2
	s_cbranch_vccnz .LBB1_30
; %bb.27:                               ;   in Loop: Header=BB1_26 Depth=2
	s_ashr_i32 s89, s88, 31
	s_and_b32 vcc_lo, exec_lo, s73
	s_lshl_b64 s[26:27], s[88:89], 2
	s_delay_alu instid0(SALU_CYCLE_1)
	s_add_nc_u64 s[26:27], s[14:15], s[26:27]
	global_load_b32 v2, v3, s[26:27]
	s_wait_loadcnt 0x0
	v_readfirstlane_b32 s89, v2
	s_cbranch_vccnz .LBB1_31
; %bb.28:                               ;   in Loop: Header=BB1_26 Depth=2
	s_and_b32 vcc_lo, exec_lo, s12
	s_cbranch_vccnz .LBB1_34
.LBB1_29:                               ;   in Loop: Header=BB1_26 Depth=2
	s_wait_storecnt_dscnt 0x0
	s_wait_xcnt 0x0
	s_and_saveexec_b32 s12, s4
	s_cbranch_execnz .LBB1_270
	s_branch .LBB1_274
.LBB1_30:                               ;   in Loop: Header=BB1_26 Depth=2
	s_mov_b32 s36, s88
	s_mov_b32 s89, s11
                                        ; implicit-def: $sgpr102
                                        ; implicit-def: $sgpr103
	s_and_b32 vcc_lo, exec_lo, s12
	s_cbranch_vccz .LBB1_275
	s_branch .LBB1_15
.LBB1_31:                               ;   in Loop: Header=BB1_26 Depth=2
	s_wait_xcnt 0x0
	s_and_saveexec_b32 s12, s2
	s_cbranch_execz .LBB1_33
; %bb.32:                               ;   in Loop: Header=BB1_26 Depth=2
	global_store_b32 v3, v31, s[48:49]
.LBB1_33:                               ;   in Loop: Header=BB1_26 Depth=2
	s_wait_xcnt 0x0
	s_or_b32 exec_lo, exec_lo, s12
	s_wait_storecnt_dscnt 0x0
	s_barrier_signal -1
	s_barrier_wait -1
	s_branch .LBB1_29
.LBB1_34:                               ;   in Loop: Header=BB1_26 Depth=2
	s_wait_xcnt 0x0
	s_and_saveexec_b32 s12, s5
	s_cbranch_execz .LBB1_37
; %bb.35:                               ;   in Loop: Header=BB1_26 Depth=2
	s_mul_i32 s26, s72, s44
	s_mov_b32 s36, 0
	s_add_co_i32 s26, s88, s26
	s_delay_alu instid0(SALU_CYCLE_1) | instskip(NEXT) | instid1(VALU_DEP_1)
	v_lshl_or_b32 v2, s26, 8, v0
	v_add_nc_u32_e32 v15, 1, v2
	v_sub_nc_u32_e32 v22, 0x7ffffffe, v2
	s_delay_alu instid0(VALU_DEP_2) | instskip(NEXT) | instid1(VALU_DEP_2)
	v_mul_hi_i32 v20, 0x40000001, v15
	v_cmp_gt_u32_e32 vcc_lo, 0x7fffff07, v22
	s_delay_alu instid0(VALU_DEP_2) | instskip(NEXT) | instid1(VALU_DEP_1)
	v_dual_lshrrev_b32 v21, 31, v20 :: v_dual_ashrrev_i32 v20, 29, v20
	v_add_nc_u32_e32 v20, v20, v21
	v_sub_nc_u32_e32 v21, 0xf7, v2
	s_delay_alu instid0(VALU_DEP_2) | instskip(NEXT) | instid1(VALU_DEP_2)
	v_mul_lo_u32 v20, 0x7fffffff, v20
	v_max_u32_e32 v21, 1, v21
	s_delay_alu instid0(VALU_DEP_1) | instskip(SKIP_1) | instid1(VALU_DEP_4)
	v_cndmask_b32_e32 v22, v21, v22, vcc_lo
	v_cmp_ne_u32_e32 vcc_lo, 0x7ffffffe, v2
	v_dual_mov_b32 v2, v0 :: v_dual_sub_nc_u32 v23, v15, v20
	v_mov_b64_e32 v[20:21], v[8:9]
	s_delay_alu instid0(VALU_DEP_2)
	v_dual_cndmask_b32 v15, 1, v22 :: v_dual_max_i32 v22, 1, v23
.LBB1_36:                               ;   Parent Loop BB1_17 Depth=1
                                        ;     Parent Loop BB1_26 Depth=2
                                        ; =>    This Inner Loop Header: Depth=3
	s_delay_alu instid0(VALU_DEP_1) | instskip(NEXT) | instid1(VALU_DEP_2)
	v_mul_hi_i32 v23, 0x5e4789c9, v22
	v_mul_hi_i32 v24, 0x4f7a09cd, v15
	v_add_nc_u32_e32 v2, 0x100, v2
	s_delay_alu instid0(VALU_DEP_3) | instskip(NEXT) | instid1(VALU_DEP_3)
	v_dual_lshrrev_b32 v25, 31, v23 :: v_dual_ashrrev_i32 v23, 14, v23
	v_dual_lshrrev_b32 v26, 31, v24 :: v_dual_ashrrev_i32 v24, 14, v24
	s_delay_alu instid0(VALU_DEP_1) | instskip(NEXT) | instid1(VALU_DEP_1)
	v_dual_add_nc_u32 v23, v23, v25 :: v_dual_add_nc_u32 v24, v24, v26
	v_mul_i32_i24_e32 v25, 0xadc8, v23
	v_mul_i32_i24_e32 v23, 0xfffff2b9, v23
	s_delay_alu instid0(VALU_DEP_3) | instskip(SKIP_1) | instid1(VALU_DEP_2)
	v_mul_i32_i24_e32 v26, 0xce26, v24
	v_mul_i32_i24_e32 v24, 0xfffff131, v24
	v_dual_sub_nc_u32 v22, v22, v25 :: v_dual_sub_nc_u32 v15, v15, v26
	s_delay_alu instid0(VALU_DEP_1) | instskip(NEXT) | instid1(VALU_DEP_2)
	v_mad_u32 v22, 0xbc8f, v22, v23
	v_mad_u32 v15, 0x9ef4, v15, v24
	s_delay_alu instid0(VALU_DEP_1) | instskip(NEXT) | instid1(VALU_DEP_1)
	v_dual_ashrrev_i32 v23, 31, v22 :: v_dual_ashrrev_i32 v24, 31, v15
	v_and_b32_e32 v23, 0x7fffffff, v23
	s_delay_alu instid0(VALU_DEP_2) | instskip(NEXT) | instid1(VALU_DEP_1)
	v_and_b32_e32 v24, 0x7fffff07, v24
	v_dual_add_nc_u32 v22, v23, v22 :: v_dual_add_nc_u32 v15, v24, v15
	s_delay_alu instid0(VALU_DEP_1) | instskip(NEXT) | instid1(VALU_DEP_1)
	v_sub_nc_u32_e32 v23, v22, v15
	v_ashrrev_i32_e32 v24, 31, v23
	s_delay_alu instid0(VALU_DEP_1) | instskip(NEXT) | instid1(VALU_DEP_1)
	v_and_b32_e32 v24, 0x7fffffff, v24
	v_add_nc_u32_e32 v23, v24, v23
	s_delay_alu instid0(VALU_DEP_1) | instskip(NEXT) | instid1(VALU_DEP_1)
	v_cvt_f64_i32_e32 v[24:25], v23
	v_div_scale_f64 v[26:27], null, s[68:69], s[68:69], v[24:25]
	v_div_scale_f64 v[42:43], vcc_lo, v[24:25], s[68:69], v[24:25]
	s_delay_alu instid0(VALU_DEP_2) | instskip(SKIP_1) | instid1(TRANS32_DEP_1)
	v_rcp_f64_e32 v[38:39], v[26:27]
	v_nop
	v_fma_f64 v[40:41], -v[26:27], v[38:39], 1.0
	s_delay_alu instid0(VALU_DEP_1) | instskip(NEXT) | instid1(VALU_DEP_1)
	v_fmac_f64_e32 v[38:39], v[38:39], v[40:41]
	v_fma_f64 v[40:41], -v[26:27], v[38:39], 1.0
	s_delay_alu instid0(VALU_DEP_1) | instskip(NEXT) | instid1(VALU_DEP_1)
	v_fmac_f64_e32 v[38:39], v[38:39], v[40:41]
	v_mul_f64_e32 v[40:41], v[42:43], v[38:39]
	s_delay_alu instid0(VALU_DEP_1) | instskip(NEXT) | instid1(VALU_DEP_1)
	v_fma_f64 v[26:27], -v[26:27], v[40:41], v[42:43]
	v_div_fmas_f64 v[26:27], v[26:27], v[38:39], v[40:41]
	v_cmp_lt_i32_e32 vcc_lo, s78, v2
	s_or_b32 s36, vcc_lo, s36
	s_delay_alu instid0(VALU_DEP_2) | instskip(NEXT) | instid1(VALU_DEP_1)
	v_div_fixup_f64 v[24:25], v[26:27], s[68:69], v[24:25]
	v_cvt_f32_f64_e32 v23, v[24:25]
	global_store_b32 v[20:21], v23, off
	s_wait_xcnt 0x0
	v_add_nc_u64_e32 v[20:21], 0x400, v[20:21]
	s_and_not1_b32 exec_lo, exec_lo, s36
	s_cbranch_execnz .LBB1_36
.LBB1_37:                               ;   in Loop: Header=BB1_26 Depth=2
	s_or_b32 exec_lo, exec_lo, s12
	s_and_saveexec_b32 s12, s6
	s_cbranch_execz .LBB1_40
; %bb.38:                               ;   in Loop: Header=BB1_26 Depth=2
	v_mov_b64_e32 v[20:21], v[18:19]
	v_mov_b64_e32 v[22:23], v[16:17]
	v_mov_b64_e32 v[24:25], v[12:13]
	v_mov_b64_e32 v[26:27], v[10:11]
	v_mov_b32_e32 v2, v0
	s_mov_b32 s36, 0
.LBB1_39:                               ;   Parent Loop BB1_17 Depth=1
                                        ;     Parent Loop BB1_26 Depth=2
                                        ; =>    This Inner Loop Header: Depth=3
	global_load_b32 v15, v[22:23], off
	v_add_nc_u32_e32 v38, s25, v2
	v_add_nc_u32_e32 v2, 0x100, v2
	s_wait_xcnt 0x0
	v_add_nc_u64_e32 v[22:23], 0x400, v[22:23]
	s_delay_alu instid0(VALU_DEP_2)
	v_cmp_le_i32_e32 vcc_lo, s78, v2
	s_or_b32 s36, vcc_lo, s36
	s_wait_loadcnt 0x0
	global_store_b32 v[26:27], v15, off
	global_load_b32 v15, v[20:21], off
	v_add_nc_u64_e32 v[26:27], 0x400, v[26:27]
	s_wait_xcnt 0x0
	v_add_nc_u64_e32 v[20:21], 0x400, v[20:21]
	s_wait_loadcnt 0x0
	global_store_b32 v38, v15, s[48:49] scale_offset
	global_store_b32 v[24:25], v15, off
	s_wait_xcnt 0x0
	v_add_nc_u64_e32 v[24:25], 0x400, v[24:25]
	s_and_not1_b32 exec_lo, exec_lo, s36
	s_cbranch_execnz .LBB1_39
.LBB1_40:                               ;   in Loop: Header=BB1_26 Depth=2
	s_or_b32 exec_lo, exec_lo, s12
	s_and_saveexec_b32 s12, s2
	s_cbranch_execz .LBB1_42
; %bb.41:                               ;   in Loop: Header=BB1_26 Depth=2
	global_load_b32 v2, v3, s[80:81] offset:-4
	s_wait_loadcnt 0x0
	global_store_b32 v3, v2, s[82:83]
.LBB1_42:                               ;   in Loop: Header=BB1_26 Depth=2
	s_wait_xcnt 0x0
	s_or_b32 exec_lo, exec_lo, s12
	s_mul_f32 s12, s22, s89
	s_cmp_lg_u32 s102, 0
	s_sub_f32 s26, s89, s11
	s_cselect_b32 s104, -1, 0
	s_bitset0_b32 s12, 31
	s_wait_storecnt_dscnt 0x0
	s_mul_f32 s27, s12, 0x41200000
	s_fmamk_f32 s12, s12, 0x41200000, s11
	s_barrier_signal -1
	s_barrier_wait -1
	s_cmp_lt_f32 s26, s27
	s_cselect_b32 s12, s12, s89
	s_cmp_eq_u32 s102, 0
	s_cselect_b32 s89, s89, s12
	s_and_saveexec_b32 s12, s2
	s_cbranch_execz .LBB1_69
; %bb.43:                               ;   in Loop: Header=BB1_26 Depth=2
	global_load_b32 v2, v3, s[52:53]
	s_mov_b64 s[90:91], 0
	s_mov_b32 s36, 1
	global_store_b32 v3, v3, s[84:85]
	s_wait_loadcnt 0x0
	v_subrev_f32_e32 v2, s89, v2
	s_clause 0x1
	global_store_b32 v3, v2, s[52:53]
	global_load_b32 v15, v3, s[56:57] offset:4
	s_wait_xcnt 0x1
	v_and_b32_e32 v2, 0x7fffffff, v2
	s_wait_loadcnt 0x0
	v_and_b32_e32 v15, 0x7fffffff, v15
	s_delay_alu instid0(VALU_DEP_1)
	v_add_f32_e32 v2, v2, v15
	s_branch .LBB1_45
.LBB1_44:                               ;   in Loop: Header=BB1_45 Depth=3
	s_add_co_i32 s36, s36, 1
	s_add_nc_u64 s[90:91], s[90:91], 4
	s_cmp_eq_u32 s79, s36
	s_cbranch_scc1 .LBB1_66
.LBB1_45:                               ;   Parent Loop BB1_17 Depth=1
                                        ;     Parent Loop BB1_26 Depth=2
                                        ; =>    This Inner Loop Header: Depth=3
	s_wait_xcnt 0x0
	s_add_nc_u64 s[96:97], s[52:53], s[90:91]
	s_add_nc_u64 s[92:93], s[58:59], s[90:91]
	global_load_b32 v15, v3, s[96:97] offset:4
	s_add_co_i32 s26, s36, -1
	s_add_nc_u64 s[94:95], s[56:57], s[90:91]
	s_cmp_lt_u32 s26, s77
	s_cselect_b32 vcc_hi, -1, 0
	s_cmp_ge_u32 s26, s77
	s_wait_loadcnt 0x0
	v_subrev_f32_e32 v20, s89, v15
	s_clause 0x1
	global_store_b32 v3, v20, s[96:97] offset:4
	global_load_b32 v22, v3, s[92:93]
	v_and_b32_e32 v15, 0x7fffffff, v20
	s_wait_loadcnt 0x0
	v_and_b32_e32 v23, 0x7fffffff, v22
	s_delay_alu instid0(VALU_DEP_1)
	v_add_f32_e32 v15, v15, v23
	s_cbranch_scc1 .LBB1_47
; %bb.46:                               ;   in Loop: Header=BB1_45 Depth=3
	global_load_b32 v21, v3, s[94:95] offset:8
	s_wait_loadcnt 0x0
	v_and_b32_e32 v21, 0x7fffffff, v21
	s_delay_alu instid0(VALU_DEP_1)
	v_add_f32_e32 v15, v15, v21
.LBB1_47:                               ;   in Loop: Header=BB1_45 Depth=3
	global_load_b32 v24, v3, s[96:97]
	s_wait_loadcnt 0x0
	v_cmp_eq_f32_e32 vcc_lo, 0, v24
	s_cbranch_vccnz .LBB1_58
; %bb.48:                               ;   in Loop: Header=BB1_45 Depth=3
	v_and_b32_e32 v21, 0x7fffffff, v24
	s_delay_alu instid0(VALU_DEP_1) | instskip(SKIP_1) | instid1(VALU_DEP_2)
	v_div_scale_f32 v25, null, v2, v2, v21
	v_div_scale_f32 v21, vcc_lo, v21, v2, v21
	v_rcp_f32_e32 v26, v25
	v_nop
	v_xor_b32_e32 v25, 0x80000000, v25
	s_delay_alu instid0(TRANS32_DEP_1) | instid1(VALU_DEP_1)
	v_fma_f32 v27, v25, v26, 1.0
	s_delay_alu instid0(VALU_DEP_1) | instskip(NEXT) | instid1(VALU_DEP_1)
	v_fmac_f32_e32 v26, v27, v26
	v_mul_f32_e32 v27, v21, v26
	s_delay_alu instid0(VALU_DEP_1) | instskip(NEXT) | instid1(VALU_DEP_1)
	v_fma_f32 v38, v25, v27, v21
	v_fmac_f32_e32 v27, v38, v26
	s_delay_alu instid0(VALU_DEP_1) | instskip(NEXT) | instid1(VALU_DEP_1)
	v_fmac_f32_e32 v21, v25, v27
	v_div_fmas_f32 v21, v21, v26, v27
	s_delay_alu instid0(VALU_DEP_1)
	v_div_fixup_f32 v21, v21, v2, |v24|
	v_cmp_neq_f32_e32 vcc_lo, 0, v22
	s_add_nc_u64 s[98:99], s[30:31], s[90:91]
	s_cbranch_vccz .LBB1_59
.LBB1_49:                               ;   in Loop: Header=BB1_45 Depth=3
	v_div_scale_f32 v25, null, v15, v15, v23
	v_div_scale_f32 v23, vcc_lo, v23, v15, v23
	s_mov_b32 s26, -1
	v_rcp_f32_e32 v26, v25
	v_nop
	v_xor_b32_e32 v25, 0x80000000, v25
	s_delay_alu instid0(TRANS32_DEP_1) | instid1(VALU_DEP_1)
	v_fma_f32 v27, v25, v26, 1.0
	s_delay_alu instid0(VALU_DEP_1) | instskip(NEXT) | instid1(VALU_DEP_1)
	v_fmac_f32_e32 v26, v27, v26
	v_mul_f32_e32 v27, v23, v26
	s_delay_alu instid0(VALU_DEP_1) | instskip(NEXT) | instid1(VALU_DEP_1)
	v_fma_f32 v38, v25, v27, v23
	v_fmac_f32_e32 v27, v38, v26
	s_delay_alu instid0(VALU_DEP_1) | instskip(NEXT) | instid1(VALU_DEP_1)
	v_fmac_f32_e32 v23, v25, v27
	v_div_fmas_f32 v23, v23, v26, v27
	s_delay_alu instid0(VALU_DEP_1) | instskip(NEXT) | instid1(VALU_DEP_1)
	v_div_fixup_f32 v23, v23, v15, |v22|
	v_cmp_nle_f32_e32 vcc_lo, v23, v21
	s_cbranch_vccnz .LBB1_53
; %bb.50:                               ;   in Loop: Header=BB1_45 Depth=3
	v_div_scale_f32 v25, null, v24, v24, v22
	v_div_scale_f32 v38, vcc_lo, v22, v24, v22
	s_delay_alu instid0(VALU_DEP_2)
	v_rcp_f32_e32 v26, v25
	v_nop
	v_xor_b32_e32 v25, 0x80000000, v25
	s_delay_alu instid0(TRANS32_DEP_1) | instid1(VALU_DEP_1)
	v_fma_f32 v27, v25, v26, 1.0
	s_delay_alu instid0(VALU_DEP_1) | instskip(NEXT) | instid1(VALU_DEP_1)
	v_fmac_f32_e32 v26, v27, v26
	v_mul_f32_e32 v27, v38, v26
	s_delay_alu instid0(VALU_DEP_1) | instskip(NEXT) | instid1(VALU_DEP_1)
	v_fma_f32 v39, v25, v27, v38
	v_fmac_f32_e32 v27, v39, v26
	s_delay_alu instid0(VALU_DEP_1) | instskip(NEXT) | instid1(VALU_DEP_1)
	v_fmac_f32_e32 v38, v25, v27
	v_div_fmas_f32 v25, v38, v26, v27
	s_and_not1_b32 vcc_lo, exec_lo, vcc_hi
	s_delay_alu instid0(VALU_DEP_1)
	v_div_fixup_f32 v25, v25, v24, v22
	s_clause 0x2
	global_store_b32 v3, v25, s[92:93]
	global_load_b32 v26, v3, s[96:97] offset:4
	global_load_b32 v27, v3, s[94:95] offset:4
	s_wait_xcnt 0x2
	v_xor_b32_e32 v25, 0x80000000, v25
	s_wait_loadcnt 0x0
	s_delay_alu instid0(VALU_DEP_1)
	v_fmac_f32_e32 v26, v25, v27
	s_clause 0x1
	global_store_b32 v3, v3, s[98:99]
	global_store_b32 v3, v26, s[96:97] offset:4
	s_cbranch_vccnz .LBB1_52
; %bb.51:                               ;   in Loop: Header=BB1_45 Depth=3
	s_add_nc_u64 s[26:27], s[60:61], s[90:91]
	global_store_b32 v3, v3, s[26:27]
.LBB1_52:                               ;   in Loop: Header=BB1_45 Depth=3
	s_wait_xcnt 0x0
	s_mov_b32 s26, 0
.LBB1_53:                               ;   in Loop: Header=BB1_45 Depth=3
	v_mov_b32_e32 v25, v15
	s_and_not1_b32 vcc_lo, exec_lo, s26
	s_cbranch_vccnz .LBB1_57
; %bb.54:                               ;   in Loop: Header=BB1_45 Depth=3
	s_clause 0x1
	global_store_b32 v3, v22, s[96:97]
	global_load_b32 v25, v3, s[94:95] offset:4
	v_div_scale_f32 v26, null, v22, v22, v24
	s_delay_alu instid0(VALU_DEP_1)
	v_rcp_f32_e32 v27, v26
	v_nop
	v_xor_b32_e32 v26, 0x80000000, v26
	s_delay_alu instid0(TRANS32_DEP_1) | instid1(VALU_DEP_1)
	v_fma_f32 v38, v26, v27, 1.0
	s_delay_alu instid0(VALU_DEP_1) | instskip(SKIP_1) | instid1(VALU_DEP_1)
	v_fmac_f32_e32 v27, v38, v27
	v_div_scale_f32 v38, vcc_lo, v24, v22, v24
	v_mul_f32_e32 v39, v38, v27
	s_delay_alu instid0(VALU_DEP_1) | instskip(NEXT) | instid1(VALU_DEP_1)
	v_fma_f32 v40, v26, v39, v38
	v_fmac_f32_e32 v39, v40, v27
	s_delay_alu instid0(VALU_DEP_1) | instskip(NEXT) | instid1(VALU_DEP_1)
	v_fmac_f32_e32 v38, v26, v39
	v_div_fmas_f32 v26, v38, v27, v39
	s_and_not1_b32 vcc_lo, exec_lo, vcc_hi
	s_wait_xcnt 0x1
	s_delay_alu instid0(VALU_DEP_1) | instskip(SKIP_2) | instid1(VALU_DEP_1)
	v_div_fixup_f32 v22, v26, v22, v24
	v_xor_b32_e32 v24, 0x80000000, v20
	s_wait_loadcnt 0x0
	v_fmac_f32_e32 v25, v24, v22
	s_clause 0x1
	global_store_b32 v3, v32, s[98:99]
	global_store_b32 v3, v25, s[96:97] offset:4
	s_cbranch_vccnz .LBB1_56
; %bb.55:                               ;   in Loop: Header=BB1_45 Depth=3
	global_load_b32 v24, v3, s[94:95] offset:8
	s_wait_xcnt 0x1
	v_xor_b32_e32 v25, 0x80000000, v22
	s_add_nc_u64 s[26:27], s[60:61], s[90:91]
	s_wait_loadcnt 0x0
	s_delay_alu instid0(VALU_DEP_1)
	v_mul_f32_e32 v25, v24, v25
	s_clause 0x1
	global_store_b32 v3, v24, s[26:27]
	global_store_b32 v3, v25, s[94:95] offset:8
.LBB1_56:                               ;   in Loop: Header=BB1_45 Depth=3
	s_wait_xcnt 0x0
	v_mov_b32_e32 v25, v2
	s_clause 0x1
	global_store_b32 v3, v20, s[94:95] offset:4
	global_store_b32 v3, v22, s[92:93]
.LBB1_57:                               ;   in Loop: Header=BB1_45 Depth=3
	s_delay_alu instid0(VALU_DEP_1)
	v_mov_b32_e32 v2, v25
	s_wait_xcnt 0x0
	s_cbranch_execz .LBB1_60
	s_branch .LBB1_63
.LBB1_58:                               ;   in Loop: Header=BB1_45 Depth=3
	v_mov_b32_e32 v21, 0
	v_cmp_neq_f32_e32 vcc_lo, 0, v22
	s_add_nc_u64 s[98:99], s[30:31], s[90:91]
	s_cbranch_vccnz .LBB1_49
.LBB1_59:                               ;   in Loop: Header=BB1_45 Depth=3
	s_wait_xcnt 0x1
                                        ; implicit-def: $vgpr23
                                        ; implicit-def: $vgpr2
.LBB1_60:                               ;   in Loop: Header=BB1_45 Depth=3
	s_and_not1_b32 vcc_lo, exec_lo, vcc_hi
	global_store_b32 v3, v3, s[98:99]
	s_cbranch_vccnz .LBB1_62
; %bb.61:                               ;   in Loop: Header=BB1_45 Depth=3
	s_add_nc_u64 s[26:27], s[60:61], s[90:91]
	global_store_b32 v3, v3, s[26:27]
.LBB1_62:                               ;   in Loop: Header=BB1_45 Depth=3
	v_dual_mov_b32 v23, 0 :: v_dual_mov_b32 v2, v15
.LBB1_63:                               ;   in Loop: Header=BB1_45 Depth=3
	s_delay_alu instid0(VALU_DEP_1) | instskip(NEXT) | instid1(VALU_DEP_1)
	v_dual_max_num_f32 v15, v23, v23 :: v_dual_max_num_f32 v20, v21, v21
	v_max_num_f32_e32 v15, v20, v15
	s_delay_alu instid0(VALU_DEP_1)
	v_cmp_nle_f32_e32 vcc_lo, v15, v30
	s_cbranch_vccnz .LBB1_44
; %bb.64:                               ;   in Loop: Header=BB1_45 Depth=3
	global_load_b32 v15, v3, s[84:85]
	s_wait_loadcnt 0x0
	v_cmp_ne_u32_e32 vcc_lo, 0, v15
	s_cbranch_vccnz .LBB1_44
; %bb.65:                               ;   in Loop: Header=BB1_45 Depth=3
	v_mov_b32_e32 v15, s36
	global_store_b32 v3, v15, s[84:85]
	s_branch .LBB1_44
.LBB1_66:                               ;   in Loop: Header=BB1_26 Depth=2
	global_load_b32 v15, v3, s[86:87]
	v_mul_f32_e32 v2, v30, v2
	s_wait_loadcnt 0x0
	v_and_b32_e32 v15, 0x7fffffff, v15
	s_delay_alu instid0(VALU_DEP_1)
	v_cmp_le_f32_e32 vcc_lo, v15, v2
	s_cbranch_vccz .LBB1_69
; %bb.67:                               ;   in Loop: Header=BB1_26 Depth=2
	global_load_b32 v2, v3, s[84:85]
	s_wait_loadcnt 0x0
	v_cmp_ne_u32_e32 vcc_lo, 0, v2
	s_cbranch_vccnz .LBB1_69
; %bb.68:                               ;   in Loop: Header=BB1_26 Depth=2
	global_store_b32 v3, v34, s[84:85]
.LBB1_69:                               ;   in Loop: Header=BB1_26 Depth=2
	s_wait_xcnt 0x0
	s_or_b32 exec_lo, exec_lo, s12
	s_sub_f32 s11, s89, s11
	s_mov_b32 s96, 0
	s_mov_b32 s98, 0
	s_delay_alu instid0(SALU_CYCLE_1) | instskip(NEXT) | instid1(SALU_CYCLE_1)
	s_bitset0_b32 s11, 31
	s_cmp_gt_f32 s11, s75
	s_cselect_b32 s97, -1, 0
	v_mov_b32_e32 v2, 0
	v_bfrev_b32_e32 v15, -2
	s_and_saveexec_b32 s12, s7
	s_cbranch_execz .LBB1_73
.LBB1_70:                               ;   in Loop: Header=BB1_26 Depth=2
	v_mov_b64_e32 v[20:21], v[8:9]
	v_dual_mov_b32 v2, 0 :: v_dual_mov_b32 v22, v0
	v_bfrev_b32_e32 v15, -2
	s_mov_b32 s36, 0
.LBB1_71:                               ;   Parent Loop BB1_17 Depth=1
                                        ;     Parent Loop BB1_26 Depth=2
                                        ; =>    This Inner Loop Header: Depth=3
	global_load_b32 v23, v[20:21], off
	v_cmp_eq_u32_e32 vcc_lo, 0x7fffffff, v15
	v_add_nc_u32_e32 v24, 1, v22
	s_wait_xcnt 0x0
	v_add_nc_u64_e32 v[20:21], 0x400, v[20:21]
	s_wait_loadcnt 0x0
	v_cmp_lt_f32_e64 s26, v2, |v23|
	s_or_b32 vcc_lo, s26, vcc_lo
	v_dual_cndmask_b32 v15, v15, v24 :: v_dual_add_nc_u32 v22, 0x100, v22
	v_cndmask_b32_e64 v2, v2, |v23|, vcc_lo
	s_delay_alu instid0(VALU_DEP_2) | instskip(SKIP_1) | instid1(SALU_CYCLE_1)
	v_cmp_ge_u32_e64 s11, v22, v34
	s_or_b32 s36, s11, s36
	s_and_not1_b32 exec_lo, exec_lo, s36
	s_cbranch_execnz .LBB1_71
; %bb.72:                               ;   in Loop: Header=BB1_26 Depth=2
	s_or_b32 exec_lo, exec_lo, s36
.LBB1_73:                               ;   Parent Loop BB1_17 Depth=1
                                        ;     Parent Loop BB1_26 Depth=2
                                        ; =>    This Loop Header: Depth=3
                                        ;         Child Loop BB1_111 Depth 4
                                        ;         Child Loop BB1_117 Depth 4
	;; [unrolled: 1-line block ×5, first 2 shown]
                                        ;           Child Loop BB1_137 Depth 5
                                        ;         Child Loop BB1_155 Depth 4
                                        ;           Child Loop BB1_156 Depth 5
                                        ;           Child Loop BB1_158 Depth 5
                                        ;         Child Loop BB1_163 Depth 4
	s_delay_alu instid0(SALU_CYCLE_1)
	s_or_b32 exec_lo, exec_lo, s12
	ds_store_2addr_stride64_b32 v28, v2, v15 offset1:8
	s_wait_storecnt_dscnt 0x0
	s_barrier_signal -1
	s_barrier_wait -1
	s_and_saveexec_b32 s12, s0
	s_cbranch_execz .LBB1_79
; %bb.74:                               ;   in Loop: Header=BB1_73 Depth=3
	ds_load_2addr_stride64_b32 v[20:21], v28 offset0:2 offset1:10
	s_mov_b32 s90, exec_lo
	s_wait_dscnt 0x0
	v_cmp_lt_f32_e64 s36, v2, v20
	v_cmpx_nlt_f32_e32 v2, v20
; %bb.75:                               ;   in Loop: Header=BB1_73 Depth=3
	v_cmp_eq_f32_e32 vcc_lo, v2, v20
	v_cmp_gt_i32_e64 s11, v15, v21
	s_and_not1_b32 s26, s36, exec_lo
	s_and_b32 s11, vcc_lo, s11
	s_delay_alu instid0(SALU_CYCLE_1) | instskip(NEXT) | instid1(SALU_CYCLE_1)
	s_and_b32 s11, s11, exec_lo
	s_or_b32 s36, s26, s11
; %bb.76:                               ;   in Loop: Header=BB1_73 Depth=3
	s_or_b32 exec_lo, exec_lo, s90
	s_and_saveexec_b32 s11, s36
; %bb.77:                               ;   in Loop: Header=BB1_73 Depth=3
	v_dual_mov_b32 v15, v21 :: v_dual_mov_b32 v2, v20
	ds_store_2addr_stride64_b32 v28, v20, v21 offset1:8
; %bb.78:                               ;   in Loop: Header=BB1_73 Depth=3
	s_or_b32 exec_lo, exec_lo, s11
.LBB1_79:                               ;   in Loop: Header=BB1_73 Depth=3
	s_delay_alu instid0(SALU_CYCLE_1)
	s_or_b32 exec_lo, exec_lo, s12
	s_wait_dscnt 0x0
	s_barrier_signal -1
	s_barrier_wait -1
	s_and_saveexec_b32 s12, s1
	s_cbranch_execz .LBB1_85
; %bb.80:                               ;   in Loop: Header=BB1_73 Depth=3
	ds_load_2addr_stride64_b32 v[20:21], v28 offset0:1 offset1:9
	s_mov_b32 s90, exec_lo
	s_wait_dscnt 0x0
	v_cmp_lt_f32_e64 s36, v2, v20
	v_cmpx_nlt_f32_e32 v2, v20
; %bb.81:                               ;   in Loop: Header=BB1_73 Depth=3
	v_cmp_eq_f32_e32 vcc_lo, v2, v20
	v_cmp_gt_i32_e64 s11, v15, v21
	s_and_not1_b32 s26, s36, exec_lo
	s_and_b32 s11, vcc_lo, s11
	s_delay_alu instid0(SALU_CYCLE_1) | instskip(NEXT) | instid1(SALU_CYCLE_1)
	s_and_b32 s11, s11, exec_lo
	s_or_b32 s36, s26, s11
; %bb.82:                               ;   in Loop: Header=BB1_73 Depth=3
	s_or_b32 exec_lo, exec_lo, s90
	s_and_saveexec_b32 s11, s36
; %bb.83:                               ;   in Loop: Header=BB1_73 Depth=3
	v_dual_mov_b32 v15, v21 :: v_dual_mov_b32 v2, v20
	ds_store_2addr_stride64_b32 v28, v20, v21 offset1:8
; %bb.84:                               ;   in Loop: Header=BB1_73 Depth=3
	s_or_b32 exec_lo, exec_lo, s11
.LBB1_85:                               ;   in Loop: Header=BB1_73 Depth=3
	s_delay_alu instid0(SALU_CYCLE_1)
	s_or_b32 exec_lo, exec_lo, s12
	s_wait_dscnt 0x0
	s_barrier_signal -1
	s_barrier_wait -1
	s_and_saveexec_b32 s36, s3
	s_cbranch_execz .LBB1_108
; %bb.86:                               ;   in Loop: Header=BB1_73 Depth=3
	v_add_nc_u32_e32 v20, 0x80, v28
	s_mov_b32 s90, exec_lo
	ds_load_2addr_stride64_b32 v[20:21], v20 offset1:8
	s_wait_dscnt 0x0
	v_cmp_lt_f32_e64 s12, v2, v20
	v_cmpx_nlt_f32_e32 v2, v20
; %bb.87:                               ;   in Loop: Header=BB1_73 Depth=3
	v_cmp_eq_f32_e32 vcc_lo, v2, v20
	v_cmp_gt_i32_e64 s11, v15, v21
	s_and_not1_b32 s12, s12, exec_lo
	s_and_b32 s11, vcc_lo, s11
	s_delay_alu instid0(SALU_CYCLE_1) | instskip(NEXT) | instid1(SALU_CYCLE_1)
	s_and_b32 s11, s11, exec_lo
	s_or_b32 s12, s12, s11
; %bb.88:                               ;   in Loop: Header=BB1_73 Depth=3
	s_or_b32 exec_lo, exec_lo, s90
	s_and_saveexec_b32 s11, s12
; %bb.89:                               ;   in Loop: Header=BB1_73 Depth=3
	v_dual_mov_b32 v2, v20 :: v_dual_mov_b32 v15, v21
	ds_store_2addr_stride64_b32 v28, v20, v21 offset1:8
; %bb.90:                               ;   in Loop: Header=BB1_73 Depth=3
	s_or_b32 exec_lo, exec_lo, s11
	v_add_nc_u32_e32 v20, 64, v28
	s_mov_b32 s90, exec_lo
	ds_load_2addr_stride64_b32 v[20:21], v20 offset1:8
	s_wait_dscnt 0x0
	v_cmp_lt_f32_e64 s12, v2, v20
	v_cmpx_nlt_f32_e32 v2, v20
; %bb.91:                               ;   in Loop: Header=BB1_73 Depth=3
	v_cmp_eq_f32_e32 vcc_lo, v2, v20
	v_cmp_gt_i32_e64 s11, v15, v21
	s_and_not1_b32 s12, s12, exec_lo
	s_and_b32 s11, vcc_lo, s11
	s_delay_alu instid0(SALU_CYCLE_1) | instskip(NEXT) | instid1(SALU_CYCLE_1)
	s_and_b32 s11, s11, exec_lo
	s_or_b32 s12, s12, s11
; %bb.92:                               ;   in Loop: Header=BB1_73 Depth=3
	s_or_b32 exec_lo, exec_lo, s90
	s_and_saveexec_b32 s11, s12
; %bb.93:                               ;   in Loop: Header=BB1_73 Depth=3
	v_dual_mov_b32 v2, v20 :: v_dual_mov_b32 v15, v21
	ds_store_2addr_stride64_b32 v28, v20, v21 offset1:8
; %bb.94:                               ;   in Loop: Header=BB1_73 Depth=3
	s_or_b32 exec_lo, exec_lo, s11
	;; [unrolled: 22-line block ×3, first 2 shown]
	v_add_nc_u32_e32 v20, 16, v28
	s_mov_b32 s90, exec_lo
	ds_load_2addr_stride64_b32 v[20:21], v20 offset1:8
	s_wait_dscnt 0x0
	v_cmp_lt_f32_e64 s12, v2, v20
	v_cmpx_nlt_f32_e32 v2, v20
; %bb.99:                               ;   in Loop: Header=BB1_73 Depth=3
	v_cmp_eq_f32_e32 vcc_lo, v2, v20
	v_cmp_gt_i32_e64 s11, v15, v21
	s_and_not1_b32 s12, s12, exec_lo
	s_and_b32 s11, vcc_lo, s11
	s_delay_alu instid0(SALU_CYCLE_1) | instskip(NEXT) | instid1(SALU_CYCLE_1)
	s_and_b32 s11, s11, exec_lo
	s_or_b32 s12, s12, s11
; %bb.100:                              ;   in Loop: Header=BB1_73 Depth=3
	s_or_b32 exec_lo, exec_lo, s90
	s_and_saveexec_b32 s11, s12
; %bb.101:                              ;   in Loop: Header=BB1_73 Depth=3
	v_dual_mov_b32 v2, v20 :: v_dual_mov_b32 v15, v21
	ds_store_2addr_stride64_b32 v28, v20, v21 offset1:8
; %bb.102:                              ;   in Loop: Header=BB1_73 Depth=3
	s_or_b32 exec_lo, exec_lo, s11
	v_add_nc_u32_e32 v20, 8, v28
	s_mov_b32 s90, exec_lo
	ds_load_2addr_stride64_b32 v[20:21], v20 offset1:8
	s_wait_dscnt 0x0
	v_cmp_lt_f32_e64 s12, v2, v20
	v_cmpx_nlt_f32_e32 v2, v20
; %bb.103:                              ;   in Loop: Header=BB1_73 Depth=3
	v_cmp_eq_f32_e32 vcc_lo, v2, v20
	v_cmp_gt_i32_e64 s11, v15, v21
	s_and_not1_b32 s12, s12, exec_lo
	s_and_b32 s11, vcc_lo, s11
	s_delay_alu instid0(SALU_CYCLE_1) | instskip(NEXT) | instid1(SALU_CYCLE_1)
	s_and_b32 s11, s11, exec_lo
	s_or_b32 s12, s12, s11
; %bb.104:                              ;   in Loop: Header=BB1_73 Depth=3
	s_or_b32 exec_lo, exec_lo, s90
	s_and_saveexec_b32 s11, s12
; %bb.105:                              ;   in Loop: Header=BB1_73 Depth=3
	v_dual_mov_b32 v2, v20 :: v_dual_mov_b32 v15, v21
	ds_store_2addr_stride64_b32 v28, v20, v21 offset1:8
; %bb.106:                              ;   in Loop: Header=BB1_73 Depth=3
	s_or_b32 exec_lo, exec_lo, s11
	v_add_nc_u32_e32 v20, 4, v28
	ds_load_2addr_stride64_b32 v[20:21], v20 offset1:8
	s_wait_dscnt 0x0
	v_cmp_eq_f32_e32 vcc_lo, v2, v20
	v_cmp_gt_i32_e64 s11, v15, v21
	v_cmp_lt_f32_e64 s12, v2, v20
	s_and_b32 s11, vcc_lo, s11
	s_delay_alu instid0(SALU_CYCLE_1) | instskip(NEXT) | instid1(SALU_CYCLE_1)
	s_or_b32 s11, s12, s11
	s_and_b32 exec_lo, exec_lo, s11
; %bb.107:                              ;   in Loop: Header=BB1_73 Depth=3
	ds_store_2addr_stride64_b32 v28, v20, v21 offset1:8
.LBB1_108:                              ;   in Loop: Header=BB1_73 Depth=3
	s_or_b32 exec_lo, exec_lo, s36
	s_wait_dscnt 0x0
	s_barrier_signal -1
	s_barrier_wait -1
	s_and_saveexec_b32 s11, s5
	s_cbranch_execz .LBB1_118
; %bb.109:                              ;   in Loop: Header=BB1_73 Depth=3
	global_load_b32 v2, v3, s[82:83]
	ds_load_b32 v15, v33
	s_mov_b32 s36, -1
	s_wait_loadcnt 0x0
	v_and_b32_e32 v2, 0x7fffffff, v2
	s_delay_alu instid0(VALU_DEP_1) | instskip(SKIP_1) | instid1(VALU_DEP_1)
	v_cmp_lt_f32_e32 vcc_lo, s22, v2
	v_cndmask_b32_e32 v2, s22, v2, vcc_lo
	v_mul_f32_e32 v20, v37, v2
	s_wait_dscnt 0x0
	s_delay_alu instid0(VALU_DEP_1) | instskip(SKIP_1) | instid1(VALU_DEP_2)
	v_div_scale_f32 v2, null, v15, v15, v20
	v_div_scale_f32 v23, vcc_lo, v20, v15, v20
	v_rcp_f32_e32 v21, v2
	v_nop
	v_xor_b32_e32 v2, 0x80000000, v2
	s_delay_alu instid0(TRANS32_DEP_1) | instid1(VALU_DEP_1)
	v_fma_f32 v22, v2, v21, 1.0
	s_delay_alu instid0(VALU_DEP_1) | instskip(NEXT) | instid1(VALU_DEP_1)
	v_fmac_f32_e32 v21, v22, v21
	v_mul_f32_e32 v22, v23, v21
	s_delay_alu instid0(VALU_DEP_1) | instskip(NEXT) | instid1(VALU_DEP_1)
	v_fma_f32 v24, v2, v22, v23
	v_fmac_f32_e32 v22, v24, v21
	s_delay_alu instid0(VALU_DEP_1) | instskip(NEXT) | instid1(VALU_DEP_1)
	v_dual_fmac_f32 v23, v2, v22 :: v_dual_mov_b32 v2, v0
	v_div_fmas_f32 v21, v23, v21, v22
	v_mov_b64_e32 v[22:23], v[6:7]
	s_delay_alu instid0(VALU_DEP_2)
	v_div_fixup_f32 v20, v21, v15, v20
	s_and_saveexec_b32 s12, s9
	s_cbranch_execz .LBB1_115
; %bb.110:                              ;   in Loop: Header=BB1_73 Depth=3
	v_mov_b64_e32 v[22:23], v[0:1]
	s_delay_alu instid0(VALU_DEP_2)
	v_dual_mov_b32 v21, v20 :: v_dual_mov_b32 v15, v36
	s_mov_b32 s36, 0
.LBB1_111:                              ;   Parent Loop BB1_17 Depth=1
                                        ;     Parent Loop BB1_26 Depth=2
                                        ;       Parent Loop BB1_73 Depth=3
                                        ; =>      This Inner Loop Header: Depth=4
	s_delay_alu instid0(VALU_DEP_1) | instskip(SKIP_1) | instid1(VALU_DEP_2)
	v_dual_mov_b32 v2, v22 :: v_dual_add_nc_u32 v15, -2, v15
	v_add_nc_u32_e32 v22, 0x200, v22
	v_lshl_add_u64 v[24:25], v[2:3], 2, s[48:49]
	v_dual_mov_b32 v2, v23 :: v_dual_add_nc_u32 v23, 0x200, v23
	s_delay_alu instid0(VALU_DEP_4) | instskip(NEXT) | instid1(VALU_DEP_2)
	v_cmp_eq_u32_e32 vcc_lo, 0, v15
	v_lshl_add_u64 v[26:27], v[2:3], 2, s[48:49]
	s_clause 0x1
	global_load_b32 v38, v[24:25], off
	global_load_b32 v39, v[26:27], off
	s_or_b32 s36, vcc_lo, s36
	s_wait_loadcnt 0x0
	v_pk_mul_f32 v[38:39], v[20:21], v[38:39]
	s_clause 0x1
	global_store_b32 v[24:25], v38, off
	global_store_b32 v[26:27], v39, off
	s_wait_xcnt 0x0
	s_and_not1_b32 exec_lo, exec_lo, s36
	s_cbranch_execnz .LBB1_111
; %bb.112:                              ;   in Loop: Header=BB1_73 Depth=3
	s_or_b32 exec_lo, exec_lo, s36
	s_mov_b32 s36, 0
                                        ; implicit-def: $vgpr22_vgpr23
	s_and_saveexec_b32 s90, s10
; %bb.113:                              ;   in Loop: Header=BB1_73 Depth=3
	v_mov_b32_e32 v15, v3
	s_mov_b32 s36, exec_lo
	s_delay_alu instid0(VALU_DEP_1)
	v_lshlrev_b64_e32 v[22:23], 2, v[14:15]
; %bb.114:                              ;   in Loop: Header=BB1_73 Depth=3
	s_or_b32 exec_lo, exec_lo, s90
	v_mov_b32_e32 v2, v14
	s_or_not1_b32 s36, s36, exec_lo
.LBB1_115:                              ;   in Loop: Header=BB1_73 Depth=3
	s_or_b32 exec_lo, exec_lo, s12
	s_delay_alu instid0(SALU_CYCLE_1)
	s_and_b32 exec_lo, exec_lo, s36
	s_cbranch_execz .LBB1_118
; %bb.116:                              ;   in Loop: Header=BB1_73 Depth=3
	v_add_nc_u64_e32 v[22:23], s[48:49], v[22:23]
	s_mov_b32 s12, 0
.LBB1_117:                              ;   Parent Loop BB1_17 Depth=1
                                        ;     Parent Loop BB1_26 Depth=2
                                        ;       Parent Loop BB1_73 Depth=3
                                        ; =>      This Inner Loop Header: Depth=4
	global_load_b32 v15, v[22:23], off
	s_wait_loadcnt 0x0
	v_dual_mul_f32 v15, v20, v15 :: v_dual_add_nc_u32 v2, 0x100, v2
	s_delay_alu instid0(VALU_DEP_1) | instskip(SKIP_4) | instid1(SALU_CYCLE_1)
	v_cmp_lt_i32_e32 vcc_lo, s78, v2
	global_store_b32 v[22:23], v15, off
	s_wait_xcnt 0x0
	v_add_nc_u64_e32 v[22:23], 0x400, v[22:23]
	s_or_b32 s12, vcc_lo, s12
	s_and_not1_b32 exec_lo, exec_lo, s12
	s_cbranch_execnz .LBB1_117
.LBB1_118:                              ;   in Loop: Header=BB1_73 Depth=3
	s_or_b32 exec_lo, exec_lo, s11
	s_wait_storecnt 0x0
	s_barrier_signal -1
	s_barrier_wait -1
	s_and_saveexec_b32 s12, s2
	s_cbranch_execz .LBB1_151
; %bb.119:                              ;   in Loop: Header=BB1_73 Depth=3
	s_clause 0x1
	global_load_b64 v[20:21], v3, s[52:53]
	global_load_b32 v2, v3, s[56:57] offset:4
	s_and_not1_b32 vcc_lo, exec_lo, s8
	s_mov_b64 s[90:91], s[60:61]
	s_mov_b64 s[92:93], s[28:29]
	s_mov_b32 s36, s77
	s_wait_loadcnt 0x0
	v_max3_num_f32 v2, |v20|, |v21|, |v2|
	s_delay_alu instid0(VALU_DEP_1)
	v_readfirstlane_b32 s11, v2
	s_cbranch_vccnz .LBB1_121
.LBB1_120:                              ;   Parent Loop BB1_17 Depth=1
                                        ;     Parent Loop BB1_26 Depth=2
                                        ;       Parent Loop BB1_73 Depth=3
                                        ; =>      This Inner Loop Header: Depth=4
	s_add_nc_u64 s[26:27], s[92:93], s[50:51]
	s_clause 0x2
	global_load_b32 v2, v3, s[92:93]
	global_load_b32 v15, v3, s[90:91]
	global_load_b32 v20, v3, s[26:27]
	s_add_co_i32 s36, s36, -1
	s_wait_xcnt 0x2
	s_add_nc_u64 s[92:93], s[92:93], 4
	s_cmp_lg_u32 s36, 0
	s_wait_xcnt 0x1
	s_add_nc_u64 s[90:91], s[90:91], 4
	s_wait_loadcnt 0x1
	v_max_num_f32_e64 v15, |v15|, |v15|
	s_wait_loadcnt 0x0
	v_max_num_f32_e64 v20, |v20|, |v20|
	s_delay_alu instid0(VALU_DEP_1) | instskip(NEXT) | instid1(VALU_DEP_1)
	v_max_num_f32_e32 v15, v20, v15
	v_max3_num_f32 v2, s11, |v2|, v15
	s_delay_alu instid0(VALU_DEP_1)
	v_readfirstlane_b32 s11, v2
	s_cbranch_scc1 .LBB1_120
.LBB1_121:                              ;   in Loop: Header=BB1_73 Depth=3
	s_mov_b32 s36, s78
	s_mov_b64 s[90:91], s[30:31]
	s_mov_b64 s[92:93], s[58:59]
	;; [unrolled: 1-line block ×3, first 2 shown]
	s_branch .LBB1_123
.LBB1_122:                              ;   in Loop: Header=BB1_123 Depth=4
	s_add_co_i32 s36, s36, -1
	s_wait_xcnt 0x0
	s_add_nc_u64 s[94:95], s[94:95], 4
	s_add_nc_u64 s[92:93], s[92:93], 4
	s_cmp_lg_u32 s36, 0
	s_add_nc_u64 s[90:91], s[90:91], 4
	s_cbranch_scc0 .LBB1_127
.LBB1_123:                              ;   Parent Loop BB1_17 Depth=1
                                        ;     Parent Loop BB1_26 Depth=2
                                        ;       Parent Loop BB1_73 Depth=3
                                        ; =>      This Inner Loop Header: Depth=4
	global_load_b32 v2, v3, s[90:91]
	s_wait_loadcnt 0x0
	v_cmp_ne_u32_e32 vcc_lo, 0, v2
	s_cbranch_vccz .LBB1_125
; %bb.124:                              ;   in Loop: Header=BB1_123 Depth=4
	global_load_b64 v[20:21], v3, s[94:95] offset:-4
	s_wait_loadcnt 0x0
	s_clause 0x1
	global_store_b32 v3, v21, s[94:95] offset:-4
	global_load_b32 v2, v3, s[92:93]
	v_xor_b32_e32 v15, 0x80000000, v21
	s_wait_loadcnt 0x0
	s_delay_alu instid0(VALU_DEP_1)
	v_fmac_f32_e32 v20, v15, v2
	global_store_b32 v3, v20, s[94:95]
	s_cbranch_execnz .LBB1_122
	s_branch .LBB1_126
.LBB1_125:                              ;   in Loop: Header=BB1_123 Depth=4
.LBB1_126:                              ;   in Loop: Header=BB1_123 Depth=4
	s_clause 0x1
	global_load_b32 v2, v3, s[92:93]
	global_load_b64 v[20:21], v3, s[94:95] offset:-4
	s_wait_loadcnt 0x1
	v_xor_b32_e32 v2, 0x80000000, v2
	s_wait_loadcnt 0x0
	s_delay_alu instid0(VALU_DEP_1)
	v_fmac_f32_e32 v21, v2, v20
	global_store_b32 v3, v21, s[94:95]
	s_branch .LBB1_122
.LBB1_127:                              ;   in Loop: Header=BB1_73 Depth=3
	s_mul_f32 s11, s22, s11
	s_mov_b32 s36, s78
	s_delay_alu instid0(SALU_CYCLE_2) | instskip(SKIP_1) | instid1(SALU_CYCLE_1)
	s_cmp_eq_f32 s11, 0
	s_cselect_b32 s94, s22, s11
	s_bitset0_b32 s94, 31
	s_delay_alu instid0(SALU_CYCLE_1)
	s_xor_b32 s95, s94, 0x80000000
	s_branch .LBB1_130
.LBB1_128:                              ;   in Loop: Header=BB1_130 Depth=4
	s_delay_alu instid0(VALU_DEP_1)
	v_mov_b32_e32 v20, v22
.LBB1_129:                              ;   in Loop: Header=BB1_130 Depth=4
	s_wait_xcnt 0x1
	s_delay_alu instid0(VALU_DEP_1)
	v_div_scale_f32 v2, null, v23, v23, v20
	s_add_co_i32 s11, s36, -1
	s_cmp_gt_i32 s36, 0
	s_mov_b32 s36, s11
	v_rcp_f32_e32 v15, v2
	v_nop
	v_xor_b32_e32 v2, 0x80000000, v2
	s_delay_alu instid0(TRANS32_DEP_1) | instid1(VALU_DEP_1)
	v_fma_f32 v21, v2, v15, 1.0
	s_delay_alu instid0(VALU_DEP_1) | instskip(SKIP_1) | instid1(VALU_DEP_1)
	v_fmac_f32_e32 v15, v21, v15
	v_div_scale_f32 v21, vcc_lo, v20, v23, v20
	v_mul_f32_e32 v22, v21, v15
	s_delay_alu instid0(VALU_DEP_1) | instskip(NEXT) | instid1(VALU_DEP_1)
	v_fma_f32 v24, v2, v22, v21
	v_fmac_f32_e32 v22, v24, v15
	s_delay_alu instid0(VALU_DEP_1) | instskip(NEXT) | instid1(VALU_DEP_1)
	v_fmac_f32_e32 v21, v2, v22
	v_div_fmas_f32 v2, v21, v15, v22
	s_delay_alu instid0(VALU_DEP_1)
	v_div_fixup_f32 v2, v2, v23, v20
	global_store_b32 v3, v2, s[90:91]
	s_cbranch_scc0 .LBB1_151
.LBB1_130:                              ;   Parent Loop BB1_17 Depth=1
                                        ;     Parent Loop BB1_26 Depth=2
                                        ;       Parent Loop BB1_73 Depth=3
                                        ; =>      This Loop Header: Depth=4
                                        ;           Child Loop BB1_137 Depth 5
	s_wait_xcnt 0x0
	v_mov_b32_e32 v2, s36
	s_lshl_b64 s[92:93], s[36:37], 2
	s_cmp_ge_i32 s36, s78
	s_add_nc_u64 s[90:91], s[48:49], s[92:93]
	global_load_b32 v20, v2, s[48:49] scale_offset
	s_cbranch_scc1 .LBB1_132
; %bb.131:                              ;   in Loop: Header=BB1_130 Depth=4
	s_add_nc_u64 s[26:27], s[56:57], s[92:93]
	s_clause 0x1
	global_load_b32 v2, v3, s[26:27] offset:4
	global_load_b32 v15, v3, s[90:91] offset:4
	s_wait_loadcnt 0x1
	v_xor_b32_e32 v2, 0x80000000, v2
	s_wait_loadcnt 0x0
	s_delay_alu instid0(VALU_DEP_1)
	v_fmac_f32_e32 v20, v2, v15
.LBB1_132:                              ;   in Loop: Header=BB1_130 Depth=4
	s_cmp_ge_i32 s36, s77
	s_cbranch_scc1 .LBB1_134
; %bb.133:                              ;   in Loop: Header=BB1_130 Depth=4
	s_wait_xcnt 0x1
	s_add_nc_u64 s[26:27], s[60:61], s[92:93]
	s_clause 0x1
	global_load_b32 v2, v3, s[26:27]
	global_load_b32 v15, v3, s[90:91] offset:8
	s_wait_loadcnt 0x1
	v_xor_b32_e32 v2, 0x80000000, v2
	s_wait_loadcnt 0x0
	s_delay_alu instid0(VALU_DEP_1)
	v_fmac_f32_e32 v20, v2, v15
.LBB1_134:                              ;   in Loop: Header=BB1_130 Depth=4
	s_wait_xcnt 0x1
	s_add_nc_u64 s[26:27], s[52:53], s[92:93]
	global_load_b32 v23, v3, s[26:27]
	s_wait_loadcnt 0x0
	v_and_b32_e32 v24, 0x7fffffff, v23
	s_delay_alu instid0(VALU_DEP_1)
	v_cmp_ngt_f32_e32 vcc_lo, 1.0, v24
	s_cbranch_vccnz .LBB1_129
; %bb.135:                              ;   in Loop: Header=BB1_130 Depth=4
	v_mov_b32_e32 v15, s95
	s_wait_xcnt 0x1
	v_and_b32_e32 v2, 0x7fffffff, v20
	v_cmp_nle_f32_e32 vcc_lo, 0, v23
	s_delay_alu instid0(VALU_DEP_3) | instskip(NEXT) | instid1(VALU_DEP_3)
	v_cndmask_b32_e32 v22, s94, v15, vcc_lo
	v_mul_f32_e32 v15, s23, v2
	s_branch .LBB1_137
.LBB1_136:                              ;   in Loop: Header=BB1_137 Depth=5
	v_dual_add_f32 v23, v21, v22 :: v_dual_add_f32 v22, v22, v22
	s_mov_b32 s11, 0
	s_mov_b32 s92, 0
	s_delay_alu instid0(VALU_DEP_1) | instskip(NEXT) | instid1(VALU_DEP_1)
	v_and_b32_e32 v24, 0x7fffffff, v23
	v_cmp_ngt_f32_e64 s93, 1.0, v24
	s_and_not1_b32 vcc_lo, exec_lo, s93
	s_cbranch_vccz .LBB1_143
.LBB1_137:                              ;   Parent Loop BB1_17 Depth=1
                                        ;     Parent Loop BB1_26 Depth=2
                                        ;       Parent Loop BB1_73 Depth=3
                                        ;         Parent Loop BB1_130 Depth=4
                                        ; =>        This Inner Loop Header: Depth=5
	v_cmp_ngt_f32_e32 vcc_lo, s23, v24
	v_mov_b32_e32 v21, v23
	s_mov_b32 s92, -1
	s_mov_b32 s11, 0
	s_mov_b32 s93, 0
	s_wait_xcnt 0x0
	s_mov_b32 s26, -1
	s_cbranch_vccnz .LBB1_140
; %bb.138:                              ;   in Loop: Header=BB1_137 Depth=5
	s_and_not1_b32 vcc_lo, exec_lo, s26
	s_cbranch_vccz .LBB1_141
.LBB1_139:                              ;   in Loop: Header=BB1_137 Depth=5
	s_and_not1_b32 vcc_lo, exec_lo, s93
	s_cbranch_vccz .LBB1_136
	s_branch .LBB1_142
.LBB1_140:                              ;   in Loop: Header=BB1_137 Depth=5
	v_mul_f32_e32 v23, v4, v24
	s_delay_alu instid0(VALU_DEP_1)
	v_cmp_gt_f32_e64 s93, v2, v23
	s_cbranch_execnz .LBB1_139
.LBB1_141:                              ;   in Loop: Header=BB1_137 Depth=5
	v_cmp_eq_f32_e32 vcc_lo, 0, v21
	v_cmp_gt_f32_e64 s11, v15, v24
	s_mov_b32 s92, 0
	s_or_b32 s93, vcc_lo, s11
	s_mov_b32 s11, -1
	s_and_not1_b32 vcc_lo, exec_lo, s93
	s_cbranch_vccz .LBB1_136
.LBB1_142:                              ;   in Loop: Header=BB1_130 Depth=4
                                        ; implicit-def: $vgpr22
                                        ; implicit-def: $vgpr23
                                        ; implicit-def: $vgpr24
.LBB1_143:                              ;   in Loop: Header=BB1_130 Depth=4
	s_and_b32 vcc_lo, exec_lo, s92
	s_mov_b32 s92, -1
	s_cbranch_vccnz .LBB1_149
; %bb.144:                              ;   in Loop: Header=BB1_130 Depth=4
	s_xor_b32 s11, s11, -1
	s_delay_alu instid0(SALU_CYCLE_1)
	s_and_b32 vcc_lo, exec_lo, s11
	s_mov_b32 s11, -1
	s_cbranch_vccz .LBB1_146
; %bb.145:                              ;   in Loop: Header=BB1_130 Depth=4
	s_mov_b32 s11, 0
.LBB1_146:                              ;   in Loop: Header=BB1_130 Depth=4
	v_mov_b32_e32 v22, v20
	s_and_not1_b32 vcc_lo, exec_lo, s11
	s_cbranch_vccnz .LBB1_148
; %bb.147:                              ;   in Loop: Header=BB1_130 Depth=4
	v_pk_mul_f32 v[22:23], v[4:5], v[20:21]
.LBB1_148:                              ;   in Loop: Header=BB1_130 Depth=4
	s_cbranch_execnz .LBB1_128
	s_branch .LBB1_150
.LBB1_149:                              ;   in Loop: Header=BB1_130 Depth=4
                                        ; implicit-def: $vgpr23
	s_and_not1_b32 vcc_lo, exec_lo, s92
	s_cbranch_vccnz .LBB1_128
.LBB1_150:                              ;   in Loop: Header=BB1_130 Depth=4
	v_dual_mov_b32 v23, v21 :: v_dual_mov_b32 v22, v20
	s_branch .LBB1_128
.LBB1_151:                              ;   in Loop: Header=BB1_73 Depth=3
	s_wait_xcnt 0x0
	s_or_b32 exec_lo, exec_lo, s12
	s_delay_alu instid0(SALU_CYCLE_1)
	s_and_not1_b32 vcc_lo, exec_lo, s104
	s_wait_storecnt 0x0
	s_barrier_signal -1
	s_barrier_wait -1
	s_cbranch_vccnz .LBB1_161
; %bb.152:                              ;   in Loop: Header=BB1_73 Depth=3
	s_and_b32 s11, s97, exec_lo
	s_cselect_b32 s11, s88, s100
	s_mov_b32 s100, s88
	s_cmp_eq_u32 s11, s88
	s_cbranch_scc1 .LBB1_161
; %bb.153:                              ;   in Loop: Header=BB1_73 Depth=3
	s_cmp_lt_i32 s11, s88
	s_cselect_b32 s12, -1, 0
	s_delay_alu instid0(SALU_CYCLE_1) | instskip(NEXT) | instid1(SALU_CYCLE_1)
	s_and_b32 s26, s2, s12
	s_and_saveexec_b32 s12, s26
	s_cbranch_execz .LBB1_160
; %bb.154:                              ;   in Loop: Header=BB1_73 Depth=3
	s_mul_i32 s26, s13, s11
	s_mov_b32 s92, s11
	s_add_co_i32 s36, s74, s26
.LBB1_155:                              ;   Parent Loop BB1_17 Depth=1
                                        ;     Parent Loop BB1_26 Depth=2
                                        ;       Parent Loop BB1_73 Depth=3
                                        ; =>      This Loop Header: Depth=4
                                        ;           Child Loop BB1_156 Depth 5
                                        ;           Child Loop BB1_158 Depth 5
	v_dual_mov_b32 v2, 0 :: v_dual_mov_b32 v15, v34
	s_mov_b64 s[90:91], s[48:49]
	s_mov_b32 s93, s36
.LBB1_156:                              ;   Parent Loop BB1_17 Depth=1
                                        ;     Parent Loop BB1_26 Depth=2
                                        ;       Parent Loop BB1_73 Depth=3
                                        ;         Parent Loop BB1_155 Depth=4
                                        ; =>        This Inner Loop Header: Depth=5
	s_wait_xcnt 0x0
	s_delay_alu instid0(VALU_DEP_1)
	v_dual_mov_b32 v20, s93 :: v_dual_add_nc_u32 v15, -1, v15
	s_add_co_i32 s93, s93, 1
	global_load_b32 v21, v3, s[90:91]
	global_load_b32 v20, v20, s[54:55] scale_offset
	s_wait_xcnt 0x1
	s_add_nc_u64 s[90:91], s[90:91], 4
	v_cmp_ne_u32_e32 vcc_lo, 0, v15
	s_wait_loadcnt 0x0
	v_fmac_f32_e32 v2, v21, v20
	s_cbranch_vccnz .LBB1_156
; %bb.157:                              ;   in Loop: Header=BB1_155 Depth=4
	s_mov_b32 s93, 0
	s_mov_b64 s[90:91], s[48:49]
.LBB1_158:                              ;   Parent Loop BB1_17 Depth=1
                                        ;     Parent Loop BB1_26 Depth=2
                                        ;       Parent Loop BB1_73 Depth=3
                                        ;         Parent Loop BB1_155 Depth=4
                                        ; =>        This Inner Loop Header: Depth=5
	s_add_co_i32 s26, s36, s93
	v_xor_b32_e32 v21, 0x80000000, v2
	v_mov_b32_e32 v15, s26
	s_add_co_i32 s93, s93, 1
	global_load_b32 v20, v3, s[90:91]
	global_load_b32 v15, v15, s[54:55] scale_offset
	v_cmp_ne_u32_e32 vcc_lo, s93, v34
	s_and_b32 vcc_lo, exec_lo, vcc_lo
	s_wait_loadcnt 0x0
	v_fmac_f32_e32 v20, v21, v15
	global_store_b32 v3, v20, s[90:91]
	s_wait_xcnt 0x0
	s_add_nc_u64 s[90:91], s[90:91], 4
	s_cbranch_vccnz .LBB1_158
; %bb.159:                              ;   in Loop: Header=BB1_155 Depth=4
	s_add_co_i32 s92, s92, 1
	s_add_co_i32 s36, s36, s13
	s_cmp_lt_i32 s92, s88
	s_cbranch_scc1 .LBB1_155
.LBB1_160:                              ;   in Loop: Header=BB1_73 Depth=3
	s_or_b32 exec_lo, exec_lo, s12
	s_mov_b32 s100, s11
	s_wait_storecnt 0x0
	s_barrier_signal -1
	s_barrier_wait -1
.LBB1_161:                              ;   in Loop: Header=BB1_73 Depth=3
	v_mov_b32_e32 v2, 0
	v_bfrev_b32_e32 v15, -2
	s_and_saveexec_b32 s12, s7
	s_cbranch_execz .LBB1_165
; %bb.162:                              ;   in Loop: Header=BB1_73 Depth=3
	v_mov_b64_e32 v[20:21], v[8:9]
	v_dual_mov_b32 v2, 0 :: v_dual_mov_b32 v22, v0
	v_bfrev_b32_e32 v15, -2
	s_mov_b32 s36, 0
.LBB1_163:                              ;   Parent Loop BB1_17 Depth=1
                                        ;     Parent Loop BB1_26 Depth=2
                                        ;       Parent Loop BB1_73 Depth=3
                                        ; =>      This Inner Loop Header: Depth=4
	global_load_b32 v23, v[20:21], off
	v_cmp_eq_u32_e32 vcc_lo, 0x7fffffff, v15
	v_add_nc_u32_e32 v24, 1, v22
	s_wait_xcnt 0x0
	v_add_nc_u64_e32 v[20:21], 0x400, v[20:21]
	s_wait_loadcnt 0x0
	v_cmp_lt_f32_e64 s26, v2, |v23|
	s_or_b32 vcc_lo, s26, vcc_lo
	v_dual_cndmask_b32 v15, v15, v24 :: v_dual_add_nc_u32 v22, 0x100, v22
	v_cndmask_b32_e64 v2, v2, |v23|, vcc_lo
	s_delay_alu instid0(VALU_DEP_2) | instskip(SKIP_1) | instid1(SALU_CYCLE_1)
	v_cmp_ge_u32_e64 s11, v22, v34
	s_or_b32 s36, s11, s36
	s_and_not1_b32 exec_lo, exec_lo, s36
	s_cbranch_execnz .LBB1_163
; %bb.164:                              ;   in Loop: Header=BB1_73 Depth=3
	s_or_b32 exec_lo, exec_lo, s36
.LBB1_165:                              ;   in Loop: Header=BB1_73 Depth=3
	s_delay_alu instid0(SALU_CYCLE_1)
	s_or_b32 exec_lo, exec_lo, s12
	ds_store_2addr_stride64_b32 v28, v2, v15 offset1:8
	s_wait_dscnt 0x0
	s_barrier_signal -1
	s_barrier_wait -1
	s_and_saveexec_b32 s12, s0
	s_cbranch_execz .LBB1_171
; %bb.166:                              ;   in Loop: Header=BB1_73 Depth=3
	ds_load_2addr_stride64_b32 v[20:21], v28 offset0:2 offset1:10
	s_mov_b32 s90, exec_lo
	s_wait_dscnt 0x0
	v_cmp_lt_f32_e64 s36, v2, v20
	v_cmpx_nlt_f32_e32 v2, v20
; %bb.167:                              ;   in Loop: Header=BB1_73 Depth=3
	v_cmp_eq_f32_e32 vcc_lo, v2, v20
	v_cmp_gt_i32_e64 s11, v15, v21
	s_and_not1_b32 s26, s36, exec_lo
	s_and_b32 s11, vcc_lo, s11
	s_delay_alu instid0(SALU_CYCLE_1) | instskip(NEXT) | instid1(SALU_CYCLE_1)
	s_and_b32 s11, s11, exec_lo
	s_or_b32 s36, s26, s11
; %bb.168:                              ;   in Loop: Header=BB1_73 Depth=3
	s_or_b32 exec_lo, exec_lo, s90
	s_and_saveexec_b32 s11, s36
; %bb.169:                              ;   in Loop: Header=BB1_73 Depth=3
	v_dual_mov_b32 v15, v21 :: v_dual_mov_b32 v2, v20
	ds_store_2addr_stride64_b32 v28, v20, v21 offset1:8
; %bb.170:                              ;   in Loop: Header=BB1_73 Depth=3
	s_or_b32 exec_lo, exec_lo, s11
.LBB1_171:                              ;   in Loop: Header=BB1_73 Depth=3
	s_delay_alu instid0(SALU_CYCLE_1)
	s_or_b32 exec_lo, exec_lo, s12
	s_wait_dscnt 0x0
	s_barrier_signal -1
	s_barrier_wait -1
	s_and_saveexec_b32 s12, s1
	s_cbranch_execz .LBB1_177
; %bb.172:                              ;   in Loop: Header=BB1_73 Depth=3
	ds_load_2addr_stride64_b32 v[20:21], v28 offset0:1 offset1:9
	s_mov_b32 s90, exec_lo
	s_wait_dscnt 0x0
	v_cmp_lt_f32_e64 s36, v2, v20
	v_cmpx_nlt_f32_e32 v2, v20
; %bb.173:                              ;   in Loop: Header=BB1_73 Depth=3
	v_cmp_eq_f32_e32 vcc_lo, v2, v20
	v_cmp_gt_i32_e64 s11, v15, v21
	s_and_not1_b32 s26, s36, exec_lo
	s_and_b32 s11, vcc_lo, s11
	s_delay_alu instid0(SALU_CYCLE_1) | instskip(NEXT) | instid1(SALU_CYCLE_1)
	s_and_b32 s11, s11, exec_lo
	s_or_b32 s36, s26, s11
; %bb.174:                              ;   in Loop: Header=BB1_73 Depth=3
	s_or_b32 exec_lo, exec_lo, s90
	s_and_saveexec_b32 s11, s36
; %bb.175:                              ;   in Loop: Header=BB1_73 Depth=3
	v_dual_mov_b32 v15, v21 :: v_dual_mov_b32 v2, v20
	ds_store_2addr_stride64_b32 v28, v20, v21 offset1:8
; %bb.176:                              ;   in Loop: Header=BB1_73 Depth=3
	s_or_b32 exec_lo, exec_lo, s11
.LBB1_177:                              ;   in Loop: Header=BB1_73 Depth=3
	s_delay_alu instid0(SALU_CYCLE_1)
	s_or_b32 exec_lo, exec_lo, s12
	s_wait_dscnt 0x0
	s_barrier_signal -1
	s_barrier_wait -1
	s_and_saveexec_b32 s36, s3
	s_cbranch_execz .LBB1_200
; %bb.178:                              ;   in Loop: Header=BB1_73 Depth=3
	v_add_nc_u32_e32 v20, 0x80, v28
	s_mov_b32 s90, exec_lo
	ds_load_2addr_stride64_b32 v[20:21], v20 offset1:8
	s_wait_dscnt 0x0
	v_cmp_lt_f32_e64 s12, v2, v20
	v_cmpx_nlt_f32_e32 v2, v20
; %bb.179:                              ;   in Loop: Header=BB1_73 Depth=3
	v_cmp_eq_f32_e32 vcc_lo, v2, v20
	v_cmp_gt_i32_e64 s11, v15, v21
	s_and_not1_b32 s12, s12, exec_lo
	s_and_b32 s11, vcc_lo, s11
	s_delay_alu instid0(SALU_CYCLE_1) | instskip(NEXT) | instid1(SALU_CYCLE_1)
	s_and_b32 s11, s11, exec_lo
	s_or_b32 s12, s12, s11
; %bb.180:                              ;   in Loop: Header=BB1_73 Depth=3
	s_or_b32 exec_lo, exec_lo, s90
	s_and_saveexec_b32 s11, s12
; %bb.181:                              ;   in Loop: Header=BB1_73 Depth=3
	v_dual_mov_b32 v2, v20 :: v_dual_mov_b32 v15, v21
	ds_store_2addr_stride64_b32 v28, v20, v21 offset1:8
; %bb.182:                              ;   in Loop: Header=BB1_73 Depth=3
	s_or_b32 exec_lo, exec_lo, s11
	v_add_nc_u32_e32 v20, 64, v28
	s_mov_b32 s90, exec_lo
	ds_load_2addr_stride64_b32 v[20:21], v20 offset1:8
	s_wait_dscnt 0x0
	v_cmp_lt_f32_e64 s12, v2, v20
	v_cmpx_nlt_f32_e32 v2, v20
; %bb.183:                              ;   in Loop: Header=BB1_73 Depth=3
	v_cmp_eq_f32_e32 vcc_lo, v2, v20
	v_cmp_gt_i32_e64 s11, v15, v21
	s_and_not1_b32 s12, s12, exec_lo
	s_and_b32 s11, vcc_lo, s11
	s_delay_alu instid0(SALU_CYCLE_1) | instskip(NEXT) | instid1(SALU_CYCLE_1)
	s_and_b32 s11, s11, exec_lo
	s_or_b32 s12, s12, s11
; %bb.184:                              ;   in Loop: Header=BB1_73 Depth=3
	s_or_b32 exec_lo, exec_lo, s90
	s_and_saveexec_b32 s11, s12
; %bb.185:                              ;   in Loop: Header=BB1_73 Depth=3
	v_dual_mov_b32 v2, v20 :: v_dual_mov_b32 v15, v21
	ds_store_2addr_stride64_b32 v28, v20, v21 offset1:8
; %bb.186:                              ;   in Loop: Header=BB1_73 Depth=3
	s_or_b32 exec_lo, exec_lo, s11
	;; [unrolled: 22-line block ×5, first 2 shown]
	v_add_nc_u32_e32 v20, 4, v28
	ds_load_2addr_stride64_b32 v[20:21], v20 offset1:8
	s_wait_dscnt 0x0
	v_cmp_eq_f32_e32 vcc_lo, v2, v20
	v_cmp_gt_i32_e64 s11, v15, v21
	v_cmp_lt_f32_e64 s12, v2, v20
	s_and_b32 s11, vcc_lo, s11
	s_delay_alu instid0(SALU_CYCLE_1) | instskip(NEXT) | instid1(SALU_CYCLE_1)
	s_or_b32 s11, s12, s11
	s_and_b32 exec_lo, exec_lo, s11
; %bb.199:                              ;   in Loop: Header=BB1_73 Depth=3
	ds_store_2addr_stride64_b32 v28, v20, v21 offset1:8
.LBB1_200:                              ;   in Loop: Header=BB1_73 Depth=3
	s_or_b32 exec_lo, exec_lo, s36
	s_wait_dscnt 0x0
	s_barrier_signal -1
	s_barrier_wait -1
	ds_load_b32 v2, v33
	s_add_co_i32 s11, s98, 1
	s_wait_dscnt 0x0
	v_cmp_ge_f32_e32 vcc_lo, v2, v35
	v_cndmask_b32_e64 v2, 0, 1, vcc_lo
	s_delay_alu instid0(VALU_DEP_1)
	v_readfirstlane_b32 s12, v2
	s_add_co_i32 s96, s96, s12
	s_cmp_lt_u32 s98, 4
	s_cselect_b32 s26, -1, 0
	s_cmp_lt_u32 s96, 2
	s_cselect_b32 s12, -1, 0
	s_delay_alu instid0(SALU_CYCLE_1) | instskip(NEXT) | instid1(SALU_CYCLE_1)
	s_and_b32 s26, s26, s12
	s_and_b32 vcc_lo, exec_lo, s26
	s_cbranch_vccz .LBB1_202
; %bb.201:                              ;   in Loop: Header=BB1_73 Depth=3
	s_mov_b32 s98, s11
	v_mov_b32_e32 v2, 0
	v_bfrev_b32_e32 v15, -2
	s_and_saveexec_b32 s12, s7
	s_cbranch_execnz .LBB1_70
	s_branch .LBB1_73
.LBB1_202:                              ;   in Loop: Header=BB1_26 Depth=2
	s_and_b32 s12, s33, s12
	s_delay_alu instid0(SALU_CYCLE_1)
	s_and_saveexec_b32 s11, s12
	s_cbranch_execz .LBB1_204
; %bb.203:                              ;   in Loop: Header=BB1_26 Depth=2
	ds_load_b32 v2, v3
	s_add_co_i32 s12, s88, 1
	s_wait_dscnt 0x0
	v_dual_mov_b32 v15, s12 :: v_dual_add_nc_u32 v20, 1, v2
	global_store_b32 v2, v15, s[46:47] scale_offset
	ds_store_b32 v3, v20
.LBB1_204:                              ;   in Loop: Header=BB1_26 Depth=2
	s_wait_xcnt 0x0
	s_or_b32 exec_lo, exec_lo, s11
	v_mov_b32_e32 v2, 0
	v_bfrev_b32_e32 v15, -2
	s_and_saveexec_b32 s12, s7
	s_cbranch_execz .LBB1_208
; %bb.205:                              ;   in Loop: Header=BB1_26 Depth=2
	v_mov_b64_e32 v[20:21], v[8:9]
	v_dual_mov_b32 v2, 0 :: v_dual_mov_b32 v22, v0
	v_bfrev_b32_e32 v15, -2
	s_mov_b32 s36, 0
.LBB1_206:                              ;   Parent Loop BB1_17 Depth=1
                                        ;     Parent Loop BB1_26 Depth=2
                                        ; =>    This Inner Loop Header: Depth=3
	global_load_b32 v23, v[20:21], off
	v_cmp_eq_u32_e32 vcc_lo, 0x7fffffff, v15
	v_add_nc_u32_e32 v24, 1, v22
	s_wait_xcnt 0x0
	v_add_nc_u64_e32 v[20:21], 0x400, v[20:21]
	s_wait_loadcnt 0x0
	v_cmp_lt_f32_e64 s26, v2, |v23|
	s_or_b32 vcc_lo, s26, vcc_lo
	v_dual_cndmask_b32 v15, v15, v24 :: v_dual_add_nc_u32 v22, 0x100, v22
	v_cndmask_b32_e64 v2, v2, |v23|, vcc_lo
	s_delay_alu instid0(VALU_DEP_2) | instskip(SKIP_1) | instid1(SALU_CYCLE_1)
	v_cmp_ge_u32_e64 s11, v22, v34
	s_or_b32 s36, s11, s36
	s_and_not1_b32 exec_lo, exec_lo, s36
	s_cbranch_execnz .LBB1_206
; %bb.207:                              ;   in Loop: Header=BB1_26 Depth=2
	s_or_b32 exec_lo, exec_lo, s36
.LBB1_208:                              ;   in Loop: Header=BB1_26 Depth=2
	s_delay_alu instid0(SALU_CYCLE_1)
	s_or_b32 exec_lo, exec_lo, s12
	ds_store_2addr_stride64_b32 v28, v2, v15 offset1:8
	s_wait_storecnt_dscnt 0x0
	s_barrier_signal -1
	s_barrier_wait -1
	s_and_saveexec_b32 s12, s0
	s_cbranch_execz .LBB1_214
; %bb.209:                              ;   in Loop: Header=BB1_26 Depth=2
	ds_load_2addr_stride64_b32 v[20:21], v28 offset0:2 offset1:10
	s_mov_b32 s90, exec_lo
	s_wait_dscnt 0x0
	v_cmp_lt_f32_e64 s36, v2, v20
	v_cmpx_nlt_f32_e32 v2, v20
; %bb.210:                              ;   in Loop: Header=BB1_26 Depth=2
	v_cmp_eq_f32_e32 vcc_lo, v2, v20
	v_cmp_gt_i32_e64 s11, v15, v21
	s_and_not1_b32 s26, s36, exec_lo
	s_and_b32 s11, vcc_lo, s11
	s_delay_alu instid0(SALU_CYCLE_1) | instskip(NEXT) | instid1(SALU_CYCLE_1)
	s_and_b32 s11, s11, exec_lo
	s_or_b32 s36, s26, s11
; %bb.211:                              ;   in Loop: Header=BB1_26 Depth=2
	s_or_b32 exec_lo, exec_lo, s90
	s_and_saveexec_b32 s11, s36
; %bb.212:                              ;   in Loop: Header=BB1_26 Depth=2
	v_dual_mov_b32 v15, v21 :: v_dual_mov_b32 v2, v20
	ds_store_2addr_stride64_b32 v28, v20, v21 offset1:8
; %bb.213:                              ;   in Loop: Header=BB1_26 Depth=2
	s_or_b32 exec_lo, exec_lo, s11
.LBB1_214:                              ;   in Loop: Header=BB1_26 Depth=2
	s_delay_alu instid0(SALU_CYCLE_1)
	s_or_b32 exec_lo, exec_lo, s12
	s_wait_dscnt 0x0
	s_barrier_signal -1
	s_barrier_wait -1
	s_and_saveexec_b32 s12, s1
	s_cbranch_execz .LBB1_220
; %bb.215:                              ;   in Loop: Header=BB1_26 Depth=2
	ds_load_2addr_stride64_b32 v[20:21], v28 offset0:1 offset1:9
	s_mov_b32 s90, exec_lo
	s_wait_dscnt 0x0
	v_cmp_lt_f32_e64 s36, v2, v20
	v_cmpx_nlt_f32_e32 v2, v20
; %bb.216:                              ;   in Loop: Header=BB1_26 Depth=2
	v_cmp_eq_f32_e32 vcc_lo, v2, v20
	v_cmp_gt_i32_e64 s11, v15, v21
	s_and_not1_b32 s26, s36, exec_lo
	s_and_b32 s11, vcc_lo, s11
	s_delay_alu instid0(SALU_CYCLE_1) | instskip(NEXT) | instid1(SALU_CYCLE_1)
	s_and_b32 s11, s11, exec_lo
	s_or_b32 s36, s26, s11
; %bb.217:                              ;   in Loop: Header=BB1_26 Depth=2
	s_or_b32 exec_lo, exec_lo, s90
	s_and_saveexec_b32 s11, s36
; %bb.218:                              ;   in Loop: Header=BB1_26 Depth=2
	v_dual_mov_b32 v15, v21 :: v_dual_mov_b32 v2, v20
	ds_store_2addr_stride64_b32 v28, v20, v21 offset1:8
; %bb.219:                              ;   in Loop: Header=BB1_26 Depth=2
	s_or_b32 exec_lo, exec_lo, s11
.LBB1_220:                              ;   in Loop: Header=BB1_26 Depth=2
	s_delay_alu instid0(SALU_CYCLE_1)
	s_or_b32 exec_lo, exec_lo, s12
	s_wait_dscnt 0x0
	s_barrier_signal -1
	s_barrier_wait -1
	s_and_saveexec_b32 s36, s3
	s_cbranch_execz .LBB1_243
; %bb.221:                              ;   in Loop: Header=BB1_26 Depth=2
	v_add_nc_u32_e32 v20, 0x80, v28
	s_mov_b32 s90, exec_lo
	ds_load_2addr_stride64_b32 v[20:21], v20 offset1:8
	s_wait_dscnt 0x0
	v_cmp_lt_f32_e64 s12, v2, v20
	v_cmpx_nlt_f32_e32 v2, v20
; %bb.222:                              ;   in Loop: Header=BB1_26 Depth=2
	v_cmp_eq_f32_e32 vcc_lo, v2, v20
	v_cmp_gt_i32_e64 s11, v15, v21
	s_and_not1_b32 s12, s12, exec_lo
	s_and_b32 s11, vcc_lo, s11
	s_delay_alu instid0(SALU_CYCLE_1) | instskip(NEXT) | instid1(SALU_CYCLE_1)
	s_and_b32 s11, s11, exec_lo
	s_or_b32 s12, s12, s11
; %bb.223:                              ;   in Loop: Header=BB1_26 Depth=2
	s_or_b32 exec_lo, exec_lo, s90
	s_and_saveexec_b32 s11, s12
; %bb.224:                              ;   in Loop: Header=BB1_26 Depth=2
	v_dual_mov_b32 v2, v20 :: v_dual_mov_b32 v15, v21
	ds_store_2addr_stride64_b32 v28, v20, v21 offset1:8
; %bb.225:                              ;   in Loop: Header=BB1_26 Depth=2
	s_or_b32 exec_lo, exec_lo, s11
	v_add_nc_u32_e32 v20, 64, v28
	s_mov_b32 s90, exec_lo
	ds_load_2addr_stride64_b32 v[20:21], v20 offset1:8
	s_wait_dscnt 0x0
	v_cmp_lt_f32_e64 s12, v2, v20
	v_cmpx_nlt_f32_e32 v2, v20
; %bb.226:                              ;   in Loop: Header=BB1_26 Depth=2
	v_cmp_eq_f32_e32 vcc_lo, v2, v20
	v_cmp_gt_i32_e64 s11, v15, v21
	s_and_not1_b32 s12, s12, exec_lo
	s_and_b32 s11, vcc_lo, s11
	s_delay_alu instid0(SALU_CYCLE_1) | instskip(NEXT) | instid1(SALU_CYCLE_1)
	s_and_b32 s11, s11, exec_lo
	s_or_b32 s12, s12, s11
; %bb.227:                              ;   in Loop: Header=BB1_26 Depth=2
	s_or_b32 exec_lo, exec_lo, s90
	s_and_saveexec_b32 s11, s12
; %bb.228:                              ;   in Loop: Header=BB1_26 Depth=2
	v_dual_mov_b32 v2, v20 :: v_dual_mov_b32 v15, v21
	ds_store_2addr_stride64_b32 v28, v20, v21 offset1:8
; %bb.229:                              ;   in Loop: Header=BB1_26 Depth=2
	s_or_b32 exec_lo, exec_lo, s11
	v_add_nc_u32_e32 v20, 32, v28
	s_mov_b32 s90, exec_lo
	ds_load_2addr_stride64_b32 v[20:21], v20 offset1:8
	s_wait_dscnt 0x0
	v_cmp_lt_f32_e64 s12, v2, v20
	v_cmpx_nlt_f32_e32 v2, v20
; %bb.230:                              ;   in Loop: Header=BB1_26 Depth=2
	v_cmp_eq_f32_e32 vcc_lo, v2, v20
	v_cmp_gt_i32_e64 s11, v15, v21
	s_and_not1_b32 s12, s12, exec_lo
	s_and_b32 s11, vcc_lo, s11
	s_delay_alu instid0(SALU_CYCLE_1) | instskip(NEXT) | instid1(SALU_CYCLE_1)
	s_and_b32 s11, s11, exec_lo
	s_or_b32 s12, s12, s11
; %bb.231:                              ;   in Loop: Header=BB1_26 Depth=2
	s_or_b32 exec_lo, exec_lo, s90
	s_and_saveexec_b32 s11, s12
; %bb.232:                              ;   in Loop: Header=BB1_26 Depth=2
	v_dual_mov_b32 v2, v20 :: v_dual_mov_b32 v15, v21
	ds_store_2addr_stride64_b32 v28, v20, v21 offset1:8
; %bb.233:                              ;   in Loop: Header=BB1_26 Depth=2
	s_or_b32 exec_lo, exec_lo, s11
	v_add_nc_u32_e32 v20, 16, v28
	s_mov_b32 s90, exec_lo
	ds_load_2addr_stride64_b32 v[20:21], v20 offset1:8
	s_wait_dscnt 0x0
	v_cmp_lt_f32_e64 s12, v2, v20
	v_cmpx_nlt_f32_e32 v2, v20
; %bb.234:                              ;   in Loop: Header=BB1_26 Depth=2
	v_cmp_eq_f32_e32 vcc_lo, v2, v20
	v_cmp_gt_i32_e64 s11, v15, v21
	s_and_not1_b32 s12, s12, exec_lo
	s_and_b32 s11, vcc_lo, s11
	s_delay_alu instid0(SALU_CYCLE_1) | instskip(NEXT) | instid1(SALU_CYCLE_1)
	s_and_b32 s11, s11, exec_lo
	s_or_b32 s12, s12, s11
; %bb.235:                              ;   in Loop: Header=BB1_26 Depth=2
	s_or_b32 exec_lo, exec_lo, s90
	s_and_saveexec_b32 s11, s12
; %bb.236:                              ;   in Loop: Header=BB1_26 Depth=2
	v_dual_mov_b32 v2, v20 :: v_dual_mov_b32 v15, v21
	ds_store_2addr_stride64_b32 v28, v20, v21 offset1:8
; %bb.237:                              ;   in Loop: Header=BB1_26 Depth=2
	s_or_b32 exec_lo, exec_lo, s11
	v_add_nc_u32_e32 v20, 8, v28
	s_mov_b32 s90, exec_lo
	ds_load_2addr_stride64_b32 v[20:21], v20 offset1:8
	s_wait_dscnt 0x0
	v_cmp_lt_f32_e64 s12, v2, v20
	v_cmpx_nlt_f32_e32 v2, v20
; %bb.238:                              ;   in Loop: Header=BB1_26 Depth=2
	v_cmp_eq_f32_e32 vcc_lo, v2, v20
	v_cmp_gt_i32_e64 s11, v15, v21
	s_and_not1_b32 s12, s12, exec_lo
	s_and_b32 s11, vcc_lo, s11
	s_delay_alu instid0(SALU_CYCLE_1) | instskip(NEXT) | instid1(SALU_CYCLE_1)
	s_and_b32 s11, s11, exec_lo
	s_or_b32 s12, s12, s11
; %bb.239:                              ;   in Loop: Header=BB1_26 Depth=2
	s_or_b32 exec_lo, exec_lo, s90
	s_and_saveexec_b32 s11, s12
; %bb.240:                              ;   in Loop: Header=BB1_26 Depth=2
	v_dual_mov_b32 v2, v20 :: v_dual_mov_b32 v15, v21
	ds_store_2addr_stride64_b32 v28, v20, v21 offset1:8
; %bb.241:                              ;   in Loop: Header=BB1_26 Depth=2
	s_or_b32 exec_lo, exec_lo, s11
	v_add_nc_u32_e32 v20, 4, v28
	ds_load_2addr_stride64_b32 v[20:21], v20 offset1:8
	s_wait_dscnt 0x0
	v_cmp_eq_f32_e32 vcc_lo, v2, v20
	v_cmp_gt_i32_e64 s11, v15, v21
	v_cmp_lt_f32_e64 s12, v2, v20
	s_and_b32 s11, vcc_lo, s11
	s_delay_alu instid0(SALU_CYCLE_1) | instskip(NEXT) | instid1(SALU_CYCLE_1)
	s_or_b32 s11, s12, s11
	s_and_b32 exec_lo, exec_lo, s11
; %bb.242:                              ;   in Loop: Header=BB1_26 Depth=2
	ds_store_2addr_stride64_b32 v28, v20, v21 offset1:8
.LBB1_243:                              ;   in Loop: Header=BB1_26 Depth=2
	s_or_b32 exec_lo, exec_lo, s36
	v_mov_b32_e32 v2, 0
	s_and_saveexec_b32 s11, s7
	s_cbranch_execz .LBB1_247
; %bb.244:                              ;   in Loop: Header=BB1_26 Depth=2
	v_mov_b64_e32 v[20:21], v[8:9]
	v_dual_mov_b32 v2, 0 :: v_dual_mov_b32 v15, v0
	s_mov_b32 s12, 0
.LBB1_245:                              ;   Parent Loop BB1_17 Depth=1
                                        ;     Parent Loop BB1_26 Depth=2
                                        ; =>    This Inner Loop Header: Depth=3
	global_load_b32 v22, v[20:21], off
	v_add_nc_u32_e32 v15, 0x100, v15
	s_wait_xcnt 0x0
	v_add_nc_u64_e32 v[20:21], 0x400, v[20:21]
	s_wait_loadcnt 0x0
	v_fmac_f32_e32 v2, v22, v22
	v_cmp_ge_u32_e32 vcc_lo, v15, v34
	s_or_b32 s12, vcc_lo, s12
	s_delay_alu instid0(SALU_CYCLE_1)
	s_and_not1_b32 exec_lo, exec_lo, s12
	s_cbranch_execnz .LBB1_245
; %bb.246:                              ;   in Loop: Header=BB1_26 Depth=2
	s_or_b32 exec_lo, exec_lo, s12
.LBB1_247:                              ;   in Loop: Header=BB1_26 Depth=2
	s_delay_alu instid0(SALU_CYCLE_1)
	s_or_b32 exec_lo, exec_lo, s11
	ds_store_b32 v28, v2 offset:1024
	s_wait_dscnt 0x0
	s_barrier_signal -1
	s_barrier_wait -1
	s_and_saveexec_b32 s11, s0
	s_cbranch_execz .LBB1_249
; %bb.248:                              ;   in Loop: Header=BB1_26 Depth=2
	ds_load_b32 v15, v28 offset:1536
	s_wait_dscnt 0x0
	v_add_f32_e32 v2, v2, v15
.LBB1_249:                              ;   in Loop: Header=BB1_26 Depth=2
	s_or_b32 exec_lo, exec_lo, s11
	s_barrier_signal -1
	s_barrier_wait -1
	s_and_saveexec_b32 s11, s0
; %bb.250:                              ;   in Loop: Header=BB1_26 Depth=2
	ds_store_b32 v28, v2 offset:1024
; %bb.251:                              ;   in Loop: Header=BB1_26 Depth=2
	s_or_b32 exec_lo, exec_lo, s11
	s_wait_dscnt 0x0
	s_barrier_signal -1
	s_barrier_wait -1
	s_and_saveexec_b32 s11, s1
	s_cbranch_execz .LBB1_253
; %bb.252:                              ;   in Loop: Header=BB1_26 Depth=2
	ds_load_b32 v15, v28 offset:1280
	s_wait_dscnt 0x0
	v_add_f32_e32 v2, v2, v15
.LBB1_253:                              ;   in Loop: Header=BB1_26 Depth=2
	s_or_b32 exec_lo, exec_lo, s11
	s_barrier_signal -1
	s_barrier_wait -1
	s_and_saveexec_b32 s11, s1
; %bb.254:                              ;   in Loop: Header=BB1_26 Depth=2
	ds_store_b32 v28, v2 offset:1024
; %bb.255:                              ;   in Loop: Header=BB1_26 Depth=2
	s_or_b32 exec_lo, exec_lo, s11
	s_wait_dscnt 0x0
	s_barrier_signal -1
	s_barrier_wait -1
	s_and_saveexec_b32 s11, s3
	s_cbranch_execz .LBB1_257
; %bb.256:                              ;   in Loop: Header=BB1_26 Depth=2
	v_add_nc_u32_e32 v2, 0x400, v28
	ds_load_2addr_b32 v[20:21], v2 offset1:32
	s_wait_dscnt 0x0
	v_add_f32_e32 v15, v20, v21
	ds_store_b32 v28, v15 offset:1024
	global_wb scope:SCOPE_DEV
	s_wait_storecnt_dscnt 0x0
	global_inv scope:SCOPE_DEV
	ds_load_2addr_b32 v[20:21], v2 offset1:16
	s_wait_dscnt 0x0
	v_add_f32_e32 v15, v20, v21
	ds_store_b32 v28, v15 offset:1024
	global_wb scope:SCOPE_DEV
	s_wait_storecnt 0x0
	s_wait_loadcnt_dscnt 0x0
	global_inv scope:SCOPE_DEV
	ds_load_2addr_b32 v[20:21], v2 offset1:8
	s_wait_dscnt 0x0
	v_add_f32_e32 v15, v20, v21
	ds_store_b32 v28, v15 offset:1024
	global_wb scope:SCOPE_DEV
	s_wait_storecnt 0x0
	s_wait_loadcnt_dscnt 0x0
	;; [unrolled: 8-line block ×3, first 2 shown]
	global_inv scope:SCOPE_DEV
	ds_load_2addr_b32 v[20:21], v2 offset1:2
	s_wait_dscnt 0x0
	v_dual_add_f32 v2, v20, v21 :: v_dual_add_nc_u32 v15, 0x400, v28
	ds_store_b32 v28, v2 offset:1024
	global_wb scope:SCOPE_DEV
	s_wait_storecnt 0x0
	s_wait_loadcnt_dscnt 0x0
	global_inv scope:SCOPE_DEV
	ds_load_2addr_b32 v[20:21], v15 offset1:1
	s_wait_dscnt 0x0
	v_add_f32_e32 v2, v20, v21
	ds_store_b32 v28, v2 offset:1024
	global_wb scope:SCOPE_DEV
	s_wait_storecnt 0x0
	s_wait_loadcnt_dscnt 0x0
	global_inv scope:SCOPE_DEV
.LBB1_257:                              ;   in Loop: Header=BB1_26 Depth=2
	s_or_b32 exec_lo, exec_lo, s11
	s_and_saveexec_b32 s11, s2
	s_cbranch_execz .LBB1_259
; %bb.258:                              ;   in Loop: Header=BB1_26 Depth=2
	ds_load_b32 v2, v33 offset:1024
	s_wait_dscnt 0x0
	v_readfirstlane_b32 s12, v2
	v_cmp_gt_f32_e32 vcc_lo, 0xf800000, v2
	s_mul_f32 s26, s12, 0x4f800000
	s_cmp_lt_f32 s12, 0xf800000
	s_delay_alu instid0(SALU_CYCLE_2) | instskip(NEXT) | instid1(SALU_CYCLE_1)
	s_cselect_b32 s12, s26, s12
	v_s_sqrt_f32 s26, s12
	s_mov_b32 s36, s12
	s_mov_b32 s91, s12
	s_delay_alu instid0(TRANS32_DEP_1) | instskip(NEXT) | instid1(SALU_CYCLE_1)
	s_add_co_i32 s27, s26, -1
	s_xor_b32 s90, s27, 0x80000000
	s_delay_alu instid0(SALU_CYCLE_1) | instskip(NEXT) | instid1(SALU_CYCLE_3)
	s_fmac_f32 s36, s90, s26
	s_cmp_le_f32 s36, 0
	s_cselect_b32 s27, s27, s26
	s_add_co_i32 s36, s26, 1
	s_delay_alu instid0(SALU_CYCLE_1) | instskip(NEXT) | instid1(SALU_CYCLE_1)
	s_xor_b32 s90, s36, 0x80000000
	s_fmac_f32 s91, s90, s26
	s_delay_alu instid0(SALU_CYCLE_3) | instskip(SKIP_1) | instid1(SALU_CYCLE_1)
	s_cmp_gt_f32 s91, 0
	s_cselect_b32 s26, s36, s27
	s_mul_f32 s27, s26, 0x37800000
	s_delay_alu instid0(SALU_CYCLE_3) | instskip(NEXT) | instid1(VALU_DEP_1)
	v_mov_b32_e32 v15, s27
	v_cndmask_b32_e32 v2, s26, v15, vcc_lo
	v_cmp_class_f32_e64 s26, s12, 0x260
	s_delay_alu instid0(VALU_DEP_1)
	v_cndmask_b32_e64 v2, v2, s12, s26
	ds_store_b32 v33, v2 offset:1024
.LBB1_259:                              ;   in Loop: Header=BB1_26 Depth=2
	s_or_b32 exec_lo, exec_lo, s11
	s_wait_loadcnt_dscnt 0x0
	s_barrier_signal -1
	s_barrier_wait -1
	ds_load_2addr_stride64_b32 v[20:21], v33 offset0:4 offset1:8
	s_wait_dscnt 0x0
	global_load_b32 v2, v21, s[48:49] offset:-4 scale_offset
	s_wait_loadcnt 0x0
	s_barrier_signal -1
	s_barrier_wait -1
	s_wait_xcnt 0x0
	s_and_saveexec_b32 s11, s5
	s_cbranch_execz .LBB1_269
; %bb.260:                              ;   in Loop: Header=BB1_26 Depth=2
	v_cmp_nle_f32_e32 vcc_lo, 0, v2
	s_mov_b32 s36, -1
	v_cndmask_b32_e64 v15, 1.0, -1.0, vcc_lo
	s_delay_alu instid0(VALU_DEP_1) | instskip(SKIP_1) | instid1(VALU_DEP_2)
	v_div_scale_f32 v2, null, v20, v20, v15
	v_div_scale_f32 v23, vcc_lo, v15, v20, v15
	v_rcp_f32_e32 v21, v2
	v_nop
	v_xor_b32_e32 v2, 0x80000000, v2
	s_delay_alu instid0(TRANS32_DEP_1) | instid1(VALU_DEP_1)
	v_fma_f32 v22, v2, v21, 1.0
	s_delay_alu instid0(VALU_DEP_1) | instskip(NEXT) | instid1(VALU_DEP_1)
	v_fmac_f32_e32 v21, v22, v21
	v_mul_f32_e32 v22, v23, v21
	s_delay_alu instid0(VALU_DEP_1) | instskip(NEXT) | instid1(VALU_DEP_1)
	v_fma_f32 v24, v2, v22, v23
	v_fmac_f32_e32 v22, v24, v21
	s_delay_alu instid0(VALU_DEP_1) | instskip(NEXT) | instid1(VALU_DEP_1)
	v_dual_fmac_f32 v23, v2, v22 :: v_dual_mov_b32 v2, v0
	v_div_fmas_f32 v21, v23, v21, v22
	v_mov_b64_e32 v[22:23], v[6:7]
	s_delay_alu instid0(VALU_DEP_2)
	v_div_fixup_f32 v20, v21, v20, v15
	s_and_saveexec_b32 s12, s9
	s_cbranch_execz .LBB1_266
; %bb.261:                              ;   in Loop: Header=BB1_26 Depth=2
	v_mov_b64_e32 v[22:23], v[0:1]
	s_delay_alu instid0(VALU_DEP_2)
	v_dual_mov_b32 v21, v20 :: v_dual_mov_b32 v15, v36
	s_mov_b32 s36, 0
.LBB1_262:                              ;   Parent Loop BB1_17 Depth=1
                                        ;     Parent Loop BB1_26 Depth=2
                                        ; =>    This Inner Loop Header: Depth=3
	s_delay_alu instid0(VALU_DEP_1) | instskip(SKIP_1) | instid1(VALU_DEP_2)
	v_dual_mov_b32 v2, v22 :: v_dual_add_nc_u32 v15, -2, v15
	v_add_nc_u32_e32 v22, 0x200, v22
	v_lshl_add_u64 v[24:25], v[2:3], 2, s[48:49]
	v_dual_mov_b32 v2, v23 :: v_dual_add_nc_u32 v23, 0x200, v23
	s_delay_alu instid0(VALU_DEP_4) | instskip(NEXT) | instid1(VALU_DEP_2)
	v_cmp_eq_u32_e32 vcc_lo, 0, v15
	v_lshl_add_u64 v[26:27], v[2:3], 2, s[48:49]
	s_clause 0x1
	global_load_b32 v38, v[24:25], off
	global_load_b32 v39, v[26:27], off
	s_or_b32 s36, vcc_lo, s36
	s_wait_loadcnt 0x0
	v_pk_mul_f32 v[38:39], v[20:21], v[38:39]
	s_clause 0x1
	global_store_b32 v[24:25], v38, off
	global_store_b32 v[26:27], v39, off
	s_wait_xcnt 0x0
	s_and_not1_b32 exec_lo, exec_lo, s36
	s_cbranch_execnz .LBB1_262
; %bb.263:                              ;   in Loop: Header=BB1_26 Depth=2
	s_or_b32 exec_lo, exec_lo, s36
	s_mov_b32 s36, 0
                                        ; implicit-def: $vgpr22_vgpr23
	s_and_saveexec_b32 s90, s10
; %bb.264:                              ;   in Loop: Header=BB1_26 Depth=2
	v_mov_b32_e32 v15, v3
	s_mov_b32 s36, exec_lo
	s_delay_alu instid0(VALU_DEP_1)
	v_lshlrev_b64_e32 v[22:23], 2, v[14:15]
; %bb.265:                              ;   in Loop: Header=BB1_26 Depth=2
	s_or_b32 exec_lo, exec_lo, s90
	v_mov_b32_e32 v2, v14
	s_or_not1_b32 s36, s36, exec_lo
.LBB1_266:                              ;   in Loop: Header=BB1_26 Depth=2
	s_or_b32 exec_lo, exec_lo, s12
	s_delay_alu instid0(SALU_CYCLE_1)
	s_and_b32 exec_lo, exec_lo, s36
	s_cbranch_execz .LBB1_269
; %bb.267:                              ;   in Loop: Header=BB1_26 Depth=2
	v_add_nc_u64_e32 v[22:23], s[48:49], v[22:23]
	s_mov_b32 s12, 0
.LBB1_268:                              ;   Parent Loop BB1_17 Depth=1
                                        ;     Parent Loop BB1_26 Depth=2
                                        ; =>    This Inner Loop Header: Depth=3
	global_load_b32 v15, v[22:23], off
	s_wait_loadcnt 0x0
	v_dual_mul_f32 v15, v20, v15 :: v_dual_add_nc_u32 v2, 0x100, v2
	s_delay_alu instid0(VALU_DEP_1) | instskip(SKIP_4) | instid1(SALU_CYCLE_1)
	v_cmp_lt_i32_e32 vcc_lo, s78, v2
	global_store_b32 v[22:23], v15, off
	s_wait_xcnt 0x0
	v_add_nc_u64_e32 v[22:23], 0x400, v[22:23]
	s_or_b32 s12, vcc_lo, s12
	s_and_not1_b32 exec_lo, exec_lo, s12
	s_cbranch_execnz .LBB1_268
.LBB1_269:                              ;   in Loop: Header=BB1_26 Depth=2
	s_or_b32 exec_lo, exec_lo, s11
	s_wait_storecnt 0x0
	s_barrier_signal -1
	s_barrier_wait -1
	s_and_saveexec_b32 s12, s4
	s_cbranch_execz .LBB1_274
.LBB1_270:                              ;   in Loop: Header=BB1_26 Depth=2
	v_mov_b32_e32 v2, v0
	s_mov_b32 s36, 0
	s_branch .LBB1_272
.LBB1_271:                              ;   in Loop: Header=BB1_272 Depth=3
	s_wait_xcnt 0x0
	s_or_b32 exec_lo, exec_lo, s11
	v_add_nc_u32_e32 v20, s103, v2
	v_add_nc_u32_e32 v2, 0x100, v2
	s_wait_loadcnt 0x0
	global_store_b32 v20, v15, s[54:55] scale_offset
	v_cmp_le_i32_e32 vcc_lo, s24, v2
	s_or_b32 s36, vcc_lo, s36
	s_wait_xcnt 0x0
	s_and_not1_b32 exec_lo, exec_lo, s36
	s_cbranch_execz .LBB1_274
.LBB1_272:                              ;   Parent Loop BB1_17 Depth=1
                                        ;     Parent Loop BB1_26 Depth=2
                                        ; =>    This Inner Loop Header: Depth=3
	s_delay_alu instid0(VALU_DEP_1) | instskip(SKIP_3) | instid1(SALU_CYCLE_1)
	v_cmp_le_i32_e32 vcc_lo, s74, v2
	v_cmp_gt_i32_e64 s11, s76, v2
	v_mov_b32_e32 v15, 0
	s_and_b32 s26, vcc_lo, s11
	s_and_saveexec_b32 s11, s26
	s_cbranch_execz .LBB1_271
; %bb.273:                              ;   in Loop: Header=BB1_272 Depth=3
	v_add_nc_u32_e32 v15, s101, v2
	global_load_b32 v15, v15, s[48:49] scale_offset
	s_branch .LBB1_271
.LBB1_274:                              ;   in Loop: Header=BB1_26 Depth=2
	s_or_b32 exec_lo, exec_lo, s12
	s_add_co_i32 s88, s88, 1
	s_add_co_i32 s102, s102, 1
	;; [unrolled: 1-line block ×3, first 2 shown]
	s_cmp_ge_i32 s88, s44
	s_wait_storecnt 0x0
	s_barrier_signal -1
	s_barrier_wait -1
	s_cselect_b32 s12, -1, 0
	s_mov_b32 s36, s43
	s_and_b32 vcc_lo, exec_lo, s12
	s_cbranch_vccnz .LBB1_15
.LBB1_275:                              ;   in Loop: Header=BB1_26 Depth=2
	s_mov_b32 s11, s89
	s_branch .LBB1_26
.LBB1_276:
	s_wait_xcnt 0x0
	s_and_saveexec_b32 s0, s2
	s_cbranch_execz .LBB1_278
; %bb.277:
	v_mov_b32_e32 v0, 0
	v_readlane_b32 s0, v44, 0
	v_readlane_b32 s6, v44, 6
	;; [unrolled: 1-line block ×4, first 2 shown]
	ds_load_b32 v1, v0
	v_readlane_b32 s2, v44, 2
	v_readlane_b32 s3, v44, 3
	s_add_nc_u64 s[0:1], s[6:7], s[34:35]
	v_readlane_b32 s4, v44, 4
	v_readlane_b32 s5, v44, 5
	s_wait_dscnt 0x0
	global_store_b32 v0, v1, s[0:1]
.LBB1_278:
	s_endpgm
	.section	.rodata,"a",@progbits
	.p2align	6, 0x0
	.amdhsa_kernel _ZN9rocsolver6v33100L12stein_kernelIffPfEEviPT0_lS4_lPiS4_lS5_lS5_lT1_iilS5_lS5_S4_S5_S3_S3_
		.amdhsa_group_segment_fixed_size 8
		.amdhsa_private_segment_fixed_size 0
		.amdhsa_kernarg_size 168
		.amdhsa_user_sgpr_count 2
		.amdhsa_user_sgpr_dispatch_ptr 0
		.amdhsa_user_sgpr_queue_ptr 0
		.amdhsa_user_sgpr_kernarg_segment_ptr 1
		.amdhsa_user_sgpr_dispatch_id 0
		.amdhsa_user_sgpr_kernarg_preload_length 0
		.amdhsa_user_sgpr_kernarg_preload_offset 0
		.amdhsa_user_sgpr_private_segment_size 0
		.amdhsa_wavefront_size32 1
		.amdhsa_uses_dynamic_stack 0
		.amdhsa_enable_private_segment 0
		.amdhsa_system_sgpr_workgroup_id_x 1
		.amdhsa_system_sgpr_workgroup_id_y 1
		.amdhsa_system_sgpr_workgroup_id_z 0
		.amdhsa_system_sgpr_workgroup_info 0
		.amdhsa_system_vgpr_workitem_id 0
		.amdhsa_next_free_vgpr 45
		.amdhsa_next_free_sgpr 105
		.amdhsa_named_barrier_count 0
		.amdhsa_reserve_vcc 1
		.amdhsa_float_round_mode_32 0
		.amdhsa_float_round_mode_16_64 0
		.amdhsa_float_denorm_mode_32 3
		.amdhsa_float_denorm_mode_16_64 3
		.amdhsa_fp16_overflow 0
		.amdhsa_memory_ordered 1
		.amdhsa_forward_progress 1
		.amdhsa_inst_pref_size 86
		.amdhsa_round_robin_scheduling 0
		.amdhsa_exception_fp_ieee_invalid_op 0
		.amdhsa_exception_fp_denorm_src 0
		.amdhsa_exception_fp_ieee_div_zero 0
		.amdhsa_exception_fp_ieee_overflow 0
		.amdhsa_exception_fp_ieee_underflow 0
		.amdhsa_exception_fp_ieee_inexact 0
		.amdhsa_exception_int_div_zero 0
	.end_amdhsa_kernel
	.section	.text._ZN9rocsolver6v33100L12stein_kernelIffPfEEviPT0_lS4_lPiS4_lS5_lS5_lT1_iilS5_lS5_S4_S5_S3_S3_,"axG",@progbits,_ZN9rocsolver6v33100L12stein_kernelIffPfEEviPT0_lS4_lPiS4_lS5_lS5_lT1_iilS5_lS5_S4_S5_S3_S3_,comdat
.Lfunc_end1:
	.size	_ZN9rocsolver6v33100L12stein_kernelIffPfEEviPT0_lS4_lPiS4_lS5_lS5_lT1_iilS5_lS5_S4_S5_S3_S3_, .Lfunc_end1-_ZN9rocsolver6v33100L12stein_kernelIffPfEEviPT0_lS4_lPiS4_lS5_lS5_lT1_iilS5_lS5_S4_S5_S3_S3_
                                        ; -- End function
	.set _ZN9rocsolver6v33100L12stein_kernelIffPfEEviPT0_lS4_lPiS4_lS5_lS5_lT1_iilS5_lS5_S4_S5_S3_S3_.num_vgpr, 45
	.set _ZN9rocsolver6v33100L12stein_kernelIffPfEEviPT0_lS4_lPiS4_lS5_lS5_lT1_iilS5_lS5_S4_S5_S3_S3_.num_agpr, 0
	.set _ZN9rocsolver6v33100L12stein_kernelIffPfEEviPT0_lS4_lPiS4_lS5_lS5_lT1_iilS5_lS5_S4_S5_S3_S3_.numbered_sgpr, 105
	.set _ZN9rocsolver6v33100L12stein_kernelIffPfEEviPT0_lS4_lPiS4_lS5_lS5_lT1_iilS5_lS5_S4_S5_S3_S3_.num_named_barrier, 0
	.set _ZN9rocsolver6v33100L12stein_kernelIffPfEEviPT0_lS4_lPiS4_lS5_lS5_lT1_iilS5_lS5_S4_S5_S3_S3_.private_seg_size, 0
	.set _ZN9rocsolver6v33100L12stein_kernelIffPfEEviPT0_lS4_lPiS4_lS5_lS5_lT1_iilS5_lS5_S4_S5_S3_S3_.uses_vcc, 1
	.set _ZN9rocsolver6v33100L12stein_kernelIffPfEEviPT0_lS4_lPiS4_lS5_lS5_lT1_iilS5_lS5_S4_S5_S3_S3_.uses_flat_scratch, 0
	.set _ZN9rocsolver6v33100L12stein_kernelIffPfEEviPT0_lS4_lPiS4_lS5_lS5_lT1_iilS5_lS5_S4_S5_S3_S3_.has_dyn_sized_stack, 0
	.set _ZN9rocsolver6v33100L12stein_kernelIffPfEEviPT0_lS4_lPiS4_lS5_lS5_lT1_iilS5_lS5_S4_S5_S3_S3_.has_recursion, 0
	.set _ZN9rocsolver6v33100L12stein_kernelIffPfEEviPT0_lS4_lPiS4_lS5_lS5_lT1_iilS5_lS5_S4_S5_S3_S3_.has_indirect_call, 0
	.section	.AMDGPU.csdata,"",@progbits
; Kernel info:
; codeLenInByte = 10924
; TotalNumSgprs: 107
; NumVgprs: 45
; ScratchSize: 0
; MemoryBound: 0
; FloatMode: 240
; IeeeMode: 1
; LDSByteSize: 8 bytes/workgroup (compile time only)
; SGPRBlocks: 0
; VGPRBlocks: 2
; NumSGPRsForWavesPerEU: 107
; NumVGPRsForWavesPerEU: 45
; NamedBarCnt: 0
; Occupancy: 16
; WaveLimiterHint : 1
; COMPUTE_PGM_RSRC2:SCRATCH_EN: 0
; COMPUTE_PGM_RSRC2:USER_SGPR: 2
; COMPUTE_PGM_RSRC2:TRAP_HANDLER: 0
; COMPUTE_PGM_RSRC2:TGID_X_EN: 1
; COMPUTE_PGM_RSRC2:TGID_Y_EN: 1
; COMPUTE_PGM_RSRC2:TGID_Z_EN: 0
; COMPUTE_PGM_RSRC2:TIDIG_COMP_CNT: 0
	.section	.text._ZN9rocsolver6v33100L12stein_kernelIddPdEEviPT0_lS4_lPiS4_lS5_lS5_lT1_iilS5_lS5_S4_S5_S3_S3_,"axG",@progbits,_ZN9rocsolver6v33100L12stein_kernelIddPdEEviPT0_lS4_lPiS4_lS5_lS5_lT1_iilS5_lS5_S4_S5_S3_S3_,comdat
	.globl	_ZN9rocsolver6v33100L12stein_kernelIddPdEEviPT0_lS4_lPiS4_lS5_lS5_lT1_iilS5_lS5_S4_S5_S3_S3_ ; -- Begin function _ZN9rocsolver6v33100L12stein_kernelIddPdEEviPT0_lS4_lPiS4_lS5_lS5_lT1_iilS5_lS5_S4_S5_S3_S3_
	.p2align	8
	.type	_ZN9rocsolver6v33100L12stein_kernelIddPdEEviPT0_lS4_lPiS4_lS5_lS5_lT1_iilS5_lS5_S4_S5_S3_S3_,@function
_ZN9rocsolver6v33100L12stein_kernelIddPdEEviPT0_lS4_lPiS4_lS5_lS5_lT1_iilS5_lS5_S4_S5_S3_S3_: ; @_ZN9rocsolver6v33100L12stein_kernelIddPdEEviPT0_lS4_lPiS4_lS5_lS5_lT1_iilS5_lS5_S4_S5_S3_S3_
; %bb.0:
	s_load_b512 s[36:51], s[0:1], 0x8
	s_bfe_u32 s2, ttmp6, 0x40010
	s_bfe_u32 s3, ttmp6, 0x40004
	s_add_co_i32 s2, s2, 1
	s_getreg_b32 s4, hwreg(HW_REG_IB_STS2, 6, 4)
	s_mul_i32 s2, ttmp7, s2
	s_delay_alu instid0(SALU_CYCLE_1) | instskip(SKIP_2) | instid1(SALU_CYCLE_1)
	s_add_co_i32 s3, s3, s2
	s_cmp_eq_u32 s4, 0
	s_cselect_b32 s4, ttmp7, s3
	s_ashr_i32 s5, s4, 31
	s_delay_alu instid0(SALU_CYCLE_1)
	s_lshl_b64 s[6:7], s[4:5], 2
	s_wait_kmcnt 0x0
	s_add_nc_u64 s[2:3], s[44:45], s[6:7]
	s_load_b32 s44, s[2:3], 0x0
	s_wait_kmcnt 0x0
	s_cmp_lt_i32 s44, 1
	s_cbranch_scc1 .LBB2_260
; %bb.1:
	s_load_b512 s[8:23], s[0:1], 0x70
                                        ; implicit-def: $vgpr62 : SGPR spill to VGPR lane
	s_mov_b64 s[52:53], 0
	v_writelane_b32 v62, s6, 0
	v_writelane_b32 v62, s7, 1
	s_wait_kmcnt 0x0
	s_cmp_eq_u64 s[10:11], 0
	s_cbranch_scc1 .LBB2_3
; %bb.2:
	s_mul_u64 s[2:3], s[12:13], s[4:5]
	s_delay_alu instid0(SALU_CYCLE_1) | instskip(NEXT) | instid1(SALU_CYCLE_1)
	s_lshl_b64 s[2:3], s[2:3], 2
	s_add_nc_u64 s[52:53], s[10:11], s[2:3]
.LBB2_3:
	v_cmp_eq_u32_e64 s2, 0, v0
	s_and_saveexec_b32 s3, s2
; %bb.4:
	v_mov_b32_e32 v1, 0
	ds_store_b32 v1, v1
; %bb.5:
	s_or_b32 exec_lo, exec_lo, s3
	v_cmp_gt_u32_e32 vcc_lo, s44, v0
	s_cmp_lg_u64 s[52:53], 0
	s_cselect_b32 s6, -1, 0
	s_delay_alu instid0(SALU_CYCLE_1) | instskip(NEXT) | instid1(SALU_CYCLE_1)
	s_and_b32 s7, vcc_lo, s6
	s_and_saveexec_b32 s3, s7
	s_cbranch_execz .LBB2_13
; %bb.6:
	v_xad_u32 v1, v0, -1, s44
	v_mov_b32_e32 v2, v0
	s_mov_b32 s10, -1
	s_mov_b32 s7, exec_lo
	s_delay_alu instid0(VALU_DEP_2)
	v_cmpx_lt_u32_e32 0xff, v1
	s_cbranch_execz .LBB2_10
; %bb.7:
	v_dual_lshrrev_b32 v1, 8, v1 :: v_dual_mov_b32 v3, 0
	s_mov_b32 s10, 0
	s_delay_alu instid0(VALU_DEP_1) | instskip(SKIP_1) | instid1(VALU_DEP_2)
	v_add_nc_u32_e32 v6, 1, v1
	v_or_b32_e32 v1, 0x100, v0
	v_and_b32_e32 v7, 0x1fffffe, v6
	s_delay_alu instid0(VALU_DEP_2) | instskip(NEXT) | instid1(VALU_DEP_2)
	v_mov_b64_e32 v[4:5], v[0:1]
	v_mov_b32_e32 v8, v7
.LBB2_8:                                ; =>This Inner Loop Header: Depth=1
	s_delay_alu instid0(VALU_DEP_1) | instskip(SKIP_1) | instid1(VALU_DEP_2)
	v_dual_mov_b32 v2, v4 :: v_dual_add_nc_u32 v8, -2, v8
	v_add_nc_u32_e32 v4, 0x200, v4
	v_lshl_add_u64 v[10:11], v[2:3], 2, s[52:53]
	v_dual_mov_b32 v2, v5 :: v_dual_add_nc_u32 v5, 0x200, v5
	s_delay_alu instid0(VALU_DEP_4) | instskip(NEXT) | instid1(VALU_DEP_2)
	v_cmp_eq_u32_e32 vcc_lo, 0, v8
	v_lshl_add_u64 v[12:13], v[2:3], 2, s[52:53]
	s_clause 0x1
	global_store_b32 v[10:11], v3, off
	global_store_b32 v[12:13], v3, off
	s_or_b32 s10, vcc_lo, s10
	s_wait_xcnt 0x0
	s_and_not1_b32 exec_lo, exec_lo, s10
	s_cbranch_execnz .LBB2_8
; %bb.9:
	s_or_b32 exec_lo, exec_lo, s10
	v_cmp_ne_u32_e32 vcc_lo, v6, v7
	v_lshl_or_b32 v2, v7, 8, v0
	s_or_not1_b32 s10, vcc_lo, exec_lo
.LBB2_10:
	s_or_b32 exec_lo, exec_lo, s7
	s_delay_alu instid0(SALU_CYCLE_1)
	s_and_b32 exec_lo, exec_lo, s10
	s_cbranch_execz .LBB2_13
; %bb.11:
	v_mov_b32_e32 v3, 0
	s_mov_b32 s7, 0
	s_delay_alu instid0(VALU_DEP_1)
	v_lshl_add_u64 v[4:5], v[2:3], 2, s[52:53]
.LBB2_12:                               ; =>This Inner Loop Header: Depth=1
	v_add_nc_u32_e32 v2, 0x100, v2
	global_store_b32 v[4:5], v3, off
	s_wait_xcnt 0x0
	v_add_nc_u64_e32 v[4:5], 0x400, v[4:5]
	v_cmp_le_i32_e32 vcc_lo, s44, v2
	s_or_b32 s7, vcc_lo, s7
	s_delay_alu instid0(SALU_CYCLE_1)
	s_and_not1_b32 exec_lo, exec_lo, s7
	s_cbranch_execnz .LBB2_12
.LBB2_13:
	s_or_b32 exec_lo, exec_lo, s3
	s_load_b256 s[24:31], s[0:1], 0x48
	v_mov_b32_e32 v1, s44
	s_wait_kmcnt 0x0
	s_mul_u64 s[10:11], s[24:25], s[4:5]
	s_delay_alu instid0(SALU_CYCLE_1) | instskip(NEXT) | instid1(SALU_CYCLE_1)
	s_lshl_b64 s[10:11], s[10:11], 2
	s_add_nc_u64 s[12:13], s[50:51], s[10:11]
	global_load_b32 v24, v1, s[12:13] offset:-4 scale_offset
	s_wait_loadcnt 0x0
	v_cmp_gt_i32_e32 vcc_lo, 1, v24
	s_cbranch_vccnz .LBB2_258
; %bb.14:
	v_div_scale_f64 v[2:3], null, s[22:23], s[22:23], 1.0
	v_div_scale_f64 v[8:9], vcc_lo, 1.0, s[22:23], 1.0
	s_mul_u64 s[34:35], s[38:39], s[4:5]
	s_mul_u64 s[38:39], s[42:43], s[4:5]
	;; [unrolled: 1-line block ×4, first 2 shown]
	s_clause 0x1
	s_load_b32 s24, s[0:1], 0x0
	s_load_b64 s[28:29], s[0:1], 0x68
	s_mov_b32 s11, 0
	s_mul_u64 s[8:9], s[8:9], s[4:5]
	v_max_num_f64_e64 v[10:11], s[20:21], s[20:21]
	s_mov_b32 s45, s11
	s_and_b32 s33, s2, s6
	s_lshl_b64 s[6:7], s[34:35], 3
	s_lshl_b64 s[8:9], s[8:9], 3
	;; [unrolled: 1-line block ×3, first 2 shown]
	s_add_nc_u64 s[36:37], s[36:37], s[6:7]
	s_add_nc_u64 s[6:7], s[30:31], s[8:9]
	;; [unrolled: 1-line block ×3, first 2 shown]
	s_lshl_b64 s[34:35], s[38:39], 3
	v_writelane_b32 v62, s8, 2
	s_add_nc_u64 s[38:39], s[40:41], s[34:35]
	v_lshlrev_b32_e32 v1, 2, v0
	s_lshl_b64 s[48:49], s[48:49], 2
	s_lshl_b64 s[42:43], s[42:43], 3
	v_writelane_b32 v62, s9, 3
	s_wait_kmcnt 0x0
	s_mul_i32 s8, s24, 5
	s_ashr_i32 s25, s24, 31
	s_ashr_i32 s9, s8, 31
	s_mul_u64 s[30:31], s[24:25], s[4:5]
	s_mul_u64 s[8:9], s[8:9], s[4:5]
	v_rcp_f64_e32 v[4:5], v[2:3]
	s_lshl_b64 s[4:5], s[30:31], 2
	s_mul_i32 s62, s24, 3
	s_add_nc_u64 s[34:35], s[18:19], s[4:5]
	s_add_nc_u64 s[18:19], s[38:39], 8
	s_mov_b32 s10, s62
	v_writelane_b32 v62, s18, 4
	s_add_nc_u64 s[68:69], s[26:27], s[48:49]
	s_ashr_i32 s27, s28, 31
	s_mov_b32 s26, s28
	s_add_nc_u64 s[40:41], s[46:47], s[42:43]
	v_writelane_b32 v62, s19, 5
	s_add_nc_u64 s[18:19], s[36:37], 8
	s_lshl_b64 s[26:27], s[26:27], 3
	s_ashr_i32 s63, s62, 31
	s_add_nc_u64 s[46:47], s[6:7], s[26:27]
	v_writelane_b32 v62, s18, 6
	s_lshl_b64 s[6:7], s[8:9], 3
	s_lshl_b64 s[26:27], s[62:63], 3
	s_add_nc_u64 s[48:49], s[16:17], s[6:7]
	s_add_nc_u64 s[6:7], s[6:7], s[26:27]
	v_writelane_b32 v62, s19, 7
	s_lshl_b64 s[42:43], s[24:25], 4
	s_add_nc_u64 s[18:19], s[16:17], s[6:7]
	s_sub_nc_u64 s[50:51], 0, s[42:43]
	s_add_nc_u64 s[54:55], s[48:49], s[26:27]
	v_writelane_b32 v62, s10, 8
	v_mov_b64_e32 v[14:15], 1.0
	v_mov_b64_e32 v[16:17], 0
	s_lshl_b64 s[66:67], s[24:25], 3
	s_add_nc_u64 s[56:57], s[54:55], s[50:51]
	v_writelane_b32 v62, s11, 9
	s_add_nc_u64 s[8:9], s[8:9], s[62:63]
	v_cmp_gt_u32_e64 s0, 0x80, v0
	v_cmp_gt_u32_e64 s1, 64, v0
	v_cmp_gt_u32_e64 s3, 32, v0
	v_writelane_b32 v62, s38, 10
	v_cmp_gt_i32_e64 s4, s24, v0
	v_fma_f64 v[6:7], -v[2:3], v[4:5], 1.0
	s_add_nc_u64 s[58:59], s[56:57], s[66:67]
	s_add_nc_u64 s[26:27], s[8:9], s[24:25]
	v_writelane_b32 v62, s39, 11
	s_lshl_b64 s[8:9], s[8:9], 3
	s_add_nc_u64 s[60:61], s[58:59], s[42:43]
	s_lshl_b32 s28, s24, 1
	s_sub_nc_u64 s[64:65], s[6:7], s[42:43]
	v_writelane_b32 v62, s68, 12
	s_lshl_b64 s[62:63], s[26:27], 3
	s_sub_nc_u64 s[70:71], s[8:9], s[66:67]
	s_add_nc_u64 s[72:73], s[6:7], 8
	s_add_nc_u64 s[74:75], s[18:19], 16
	s_mov_b64 s[78:79], 0x41dfffffff800000
	s_add_nc_u64 s[80:81], s[48:49], 8
	s_mov_b32 s82, s11
	s_mov_b32 s25, 0
                                        ; implicit-def: $vgpr32_vgpr33
                                        ; implicit-def: $vgpr20_vgpr21
                                        ; implicit-def: $vgpr22_vgpr23
                                        ; implicit-def: $sgpr85
                                        ; implicit-def: $vgpr18_vgpr19
	v_writelane_b32 v62, s69, 13
	v_mov_b32_e32 v52, 8
	v_fmac_f64_e32 v[4:5], v[4:5], v[6:7]
	s_delay_alu instid0(VALU_DEP_1) | instskip(NEXT) | instid1(VALU_DEP_1)
	v_fma_f64 v[6:7], -v[2:3], v[4:5], 1.0
	v_fmac_f64_e32 v[4:5], v[4:5], v[6:7]
	s_delay_alu instid0(VALU_DEP_1) | instskip(NEXT) | instid1(VALU_DEP_1)
	v_mul_f64_e32 v[6:7], v[8:9], v[4:5]
	v_dual_fma_f64 v[8:9], -v[2:3], v[6:7], v[8:9] :: v_dual_lshlrev_b32 v2, 3, v0
	s_delay_alu instid0(VALU_DEP_1) | instskip(NEXT) | instid1(VALU_DEP_2)
	v_dual_mov_b32 v3, 0 :: v_dual_add_nc_u32 v50, 8, v2
	v_div_fmas_f64 v[6:7], v[8:9], v[4:5], v[6:7]
	v_dual_max_num_f64 v[4:5], 0, v[10:11] :: v_dual_add_nc_u32 v8, s24, v0
	s_delay_alu instid0(VALU_DEP_3) | instskip(NEXT) | instid1(VALU_DEP_4)
	v_sub_nc_u32_e32 v51, v50, v1
	v_add_nc_u64_e32 v[10:11], s[18:19], v[2:3]
	s_delay_alu instid0(VALU_DEP_3) | instskip(NEXT) | instid1(VALU_DEP_1)
	v_ashrrev_i32_e32 v9, 31, v8
	v_lshl_add_u64 v[12:13], v[8:9], 3, s[48:49]
	v_add_nc_u64_e32 v[8:9], s[48:49], v[2:3]
	v_mov_b32_e32 v2, 1
	s_delay_alu instid0(VALU_DEP_3)
	v_add_nc_u64_e32 v[12:13], 8, v[12:13]
	v_div_fixup_f64 v[6:7], v[6:7], s[22:23], 1.0
	s_branch .LBB2_17
.LBB2_15:                               ;   in Loop: Header=BB2_17 Depth=1
	v_readlane_b32 s6, v62, 2
	v_readlane_b32 s7, v62, 3
	;; [unrolled: 1-line block ×6, first 2 shown]
	global_load_b32 v24, v3, s[6:7] offset:-4
	s_mov_b32 s25, s10
.LBB2_16:                               ;   in Loop: Header=BB2_17 Depth=1
	s_add_co_i32 s82, s82, 1
	s_wait_loadcnt 0x0
	v_cmp_ge_i32_e32 vcc_lo, s82, v24
	s_cbranch_vccnz .LBB2_258
.LBB2_17:                               ; =>This Loop Header: Depth=1
                                        ;     Child Loop BB2_22 Depth 2
                                        ;     Child Loop BB2_27 Depth 2
                                        ;       Child Loop BB2_37 Depth 3
                                        ;       Child Loop BB2_40 Depth 3
	;; [unrolled: 1-line block ×5, first 2 shown]
                                        ;         Child Loop BB2_112 Depth 4
                                        ;         Child Loop BB2_115 Depth 4
                                        ;         Child Loop BB2_118 Depth 4
                                        ;         Child Loop BB2_125 Depth 4
                                        ;           Child Loop BB2_131 Depth 5
                                        ;         Child Loop BB2_145 Depth 4
                                        ;           Child Loop BB2_146 Depth 5
                                        ;           Child Loop BB2_148 Depth 5
                                        ;         Child Loop BB2_153 Depth 4
                                        ;       Child Loop BB2_196 Depth 3
                                        ;       Child Loop BB2_235 Depth 3
	;; [unrolled: 1-line block ×4, first 2 shown]
	s_cmp_eq_u32 s82, 0
	s_wait_xcnt 0x0
	s_mov_b64 s[6:7], 0
	s_mov_b32 s84, s11
	s_cbranch_scc1 .LBB2_19
; %bb.18:                               ;   in Loop: Header=BB2_17 Depth=1
	v_mov_b32_e32 v25, s82
	s_mov_b32 s83, s11
	s_delay_alu instid0(SALU_CYCLE_1)
	s_mov_b64 s[6:7], s[82:83]
	global_load_b32 v25, v25, s[68:69] offset:-4 scale_offset
	s_wait_loadcnt 0x0
	v_readfirstlane_b32 s84, v25
.LBB2_19:                               ;   in Loop: Header=BB2_17 Depth=1
	s_lshl_b64 s[6:7], s[6:7], 2
	s_delay_alu instid0(VALU_DEP_1)
	s_not_b32 s5, s84
	s_add_nc_u64 s[6:7], s[68:69], s[6:7]
	global_load_b32 v25, v3, s[6:7]
	s_wait_loadcnt 0x0
	v_readfirstlane_b32 s86, v25
	v_subrev_nc_u32_e32 v53, s84, v25
	s_add_co_i32 s88, s5, s86
	s_delay_alu instid0(SALU_CYCLE_1) | instskip(SKIP_1) | instid1(SALU_CYCLE_1)
	s_cmp_lt_i32 s88, 1
	s_cselect_b32 s45, -1, 0
	s_and_b32 vcc_lo, exec_lo, s45
	s_cbranch_vccnz .LBB2_24
; %bb.20:                               ;   in Loop: Header=BB2_17 Depth=1
	v_dual_mov_b32 v20, s84 :: v_dual_mov_b32 v25, s86
	s_add_co_i32 s5, s86, -2
	s_clause 0x1
	global_load_b64 v[18:19], v20, s[36:37] scale_offset
	global_load_b64 v[20:21], v20, s[38:39] scale_offset
	s_clause 0x1
	global_load_b64 v[22:23], v25, s[36:37] offset:-8 scale_offset
	global_load_b64 v[26:27], v25, s[38:39] offset:-16 scale_offset
	s_cmp_ge_i32 s84, s5
	s_wait_loadcnt 0x2
	v_add_f64_e64 v[18:19], |v[18:19]|, |v[20:21]|
	s_wait_loadcnt 0x0
	v_add_f64_e64 v[22:23], |v[22:23]|, |v[26:27]|
	s_delay_alu instid0(VALU_DEP_1)
	v_cmp_lt_f64_e32 vcc_lo, v[18:19], v[22:23]
	v_dual_cndmask_b32 v19, v19, v23 :: v_dual_cndmask_b32 v18, v18, v22
	s_cbranch_scc1 .LBB2_23
; %bb.21:                               ;   in Loop: Header=BB2_17 Depth=1
	v_readlane_b32 s6, v62, 4
	v_readlane_b32 s18, v62, 6
	;; [unrolled: 1-line block ×4, first 2 shown]
	s_ashr_i32 s85, s84, 31
	s_mov_b32 s10, s84
	s_lshl_b64 s[8:9], s[84:85], 3
	s_delay_alu instid0(SALU_CYCLE_1)
	s_add_nc_u64 s[6:7], s[6:7], s[8:9]
	s_add_nc_u64 s[8:9], s[18:19], s[8:9]
.LBB2_22:                               ;   Parent Loop BB2_17 Depth=1
                                        ; =>  This Inner Loop Header: Depth=2
	global_load_b64 v[22:23], v3, s[8:9]
	s_add_co_i32 s10, s10, 1
	s_wait_xcnt 0x0
	s_add_nc_u64 s[8:9], s[8:9], 8
	s_cmp_lt_i32 s10, s5
	s_wait_loadcnt 0x0
	v_add_f64_e64 v[22:23], |v[20:21]|, |v[22:23]|
	global_load_b64 v[20:21], v3, s[6:7]
	s_wait_xcnt 0x0
	s_add_nc_u64 s[6:7], s[6:7], 8
	s_wait_loadcnt 0x0
	v_add_f64_e64 v[22:23], v[22:23], |v[20:21]|
	s_delay_alu instid0(VALU_DEP_1)
	v_cmp_lt_f64_e32 vcc_lo, v[18:19], v[22:23]
	v_dual_cndmask_b32 v19, v19, v23 :: v_dual_cndmask_b32 v18, v18, v22
	s_cbranch_scc1 .LBB2_22
.LBB2_23:                               ;   in Loop: Header=BB2_17 Depth=1
	s_wait_xcnt 0x2
	v_cvt_f64_u32_e32 v[20:21], v53
	s_mov_b64 s[6:7], 0x3fb999999999999a
	s_mov_b32 s85, s25
	s_delay_alu instid0(VALU_DEP_1) | instskip(SKIP_1) | instid1(VALU_DEP_2)
	v_div_scale_f64 v[22:23], null, v[20:21], v[20:21], s[6:7]
	v_div_scale_f64 v[30:31], vcc_lo, s[6:7], v[20:21], s[6:7]
	v_rcp_f64_e32 v[26:27], v[22:23]
	v_nop
	s_delay_alu instid0(TRANS32_DEP_1) | instskip(NEXT) | instid1(VALU_DEP_1)
	v_fma_f64 v[28:29], -v[22:23], v[26:27], 1.0
	v_fmac_f64_e32 v[26:27], v[26:27], v[28:29]
	s_delay_alu instid0(VALU_DEP_1) | instskip(NEXT) | instid1(VALU_DEP_1)
	v_fma_f64 v[28:29], -v[22:23], v[26:27], 1.0
	v_fmac_f64_e32 v[26:27], v[26:27], v[28:29]
	s_delay_alu instid0(VALU_DEP_1) | instskip(NEXT) | instid1(VALU_DEP_1)
	v_mul_f64_e32 v[28:29], v[30:31], v[26:27]
	v_fma_f64 v[22:23], -v[22:23], v[28:29], v[30:31]
	s_delay_alu instid0(VALU_DEP_1) | instskip(NEXT) | instid1(VALU_DEP_1)
	v_div_fmas_f64 v[22:23], v[22:23], v[26:27], v[28:29]
	v_div_fixup_f64 v[20:21], v[22:23], v[20:21], s[6:7]
	s_delay_alu instid0(VALU_DEP_1) | instskip(SKIP_2) | instid1(SALU_CYCLE_1)
	v_cmp_gt_f64_e32 vcc_lo, 0x10000000, v[20:21]
	s_and_b32 s5, vcc_lo, exec_lo
	s_cselect_b32 s5, 0x100, 0
	v_ldexp_f64 v[20:21], v[20:21], s5
	s_cselect_b32 s5, 0xffffff80, 0
	s_delay_alu instid0(VALU_DEP_1) | instskip(SKIP_1) | instid1(TRANS32_DEP_1)
	v_rsq_f64_e32 v[22:23], v[20:21]
	v_cmp_class_f64_e64 vcc_lo, v[20:21], 0x260
	v_mul_f64_e32 v[26:27], v[20:21], v[22:23]
	v_mul_f64_e32 v[22:23], 0.5, v[22:23]
	s_delay_alu instid0(VALU_DEP_1) | instskip(NEXT) | instid1(VALU_DEP_1)
	v_fma_f64 v[28:29], -v[22:23], v[26:27], 0.5
	v_fmac_f64_e32 v[26:27], v[26:27], v[28:29]
	v_fmac_f64_e32 v[22:23], v[22:23], v[28:29]
	s_delay_alu instid0(VALU_DEP_2) | instskip(NEXT) | instid1(VALU_DEP_1)
	v_fma_f64 v[28:29], -v[26:27], v[26:27], v[20:21]
	v_fmac_f64_e32 v[26:27], v[28:29], v[22:23]
	s_delay_alu instid0(VALU_DEP_1) | instskip(NEXT) | instid1(VALU_DEP_1)
	v_fma_f64 v[28:29], -v[26:27], v[26:27], v[20:21]
	v_fmac_f64_e32 v[26:27], v[28:29], v[22:23]
	v_mul_f64_e32 v[22:23], 0x3f50624dd2f1a9fc, v[18:19]
	s_delay_alu instid0(VALU_DEP_2) | instskip(NEXT) | instid1(VALU_DEP_1)
	v_ldexp_f64 v[26:27], v[26:27], s5
	v_dual_cndmask_b32 v21, v27, v21 :: v_dual_cndmask_b32 v20, v26, v20
.LBB2_24:                               ;   in Loop: Header=BB2_17 Depth=1
	s_cmp_ge_i32 s25, s44
	s_cbranch_scc1 .LBB2_16
; %bb.25:                               ;   in Loop: Header=BB2_17 Depth=1
	s_wait_xcnt 0x0
	v_cvt_f64_u32_e32 v[24:25], v53
	v_add_nc_u32_e32 v26, s84, v0
	v_readlane_b32 s18, v62, 8
	s_ashr_i32 s87, s86, 31
	v_readlane_b32 s19, v62, 9
	s_lshl_b64 s[8:9], s[86:87], 3
	s_mov_b32 s89, s11
	s_add_co_i32 s18, s88, s18
	s_add_nc_u64 s[90:91], s[36:37], s[8:9]
	s_ashr_i32 s19, s18, 31
	v_cmp_ge_i32_e64 s5, s88, v0
	s_lshl_b64 s[8:9], s[18:19], 3
	v_cmp_gt_i32_e64 s6, s88, v0
	s_add_nc_u64 s[92:93], s[48:49], s[8:9]
	s_lshl_b64 s[8:9], s[88:89], 2
	v_cmp_lt_u32_e64 s7, v0, v53
	s_add_nc_u64 s[94:95], s[34:35], s[8:9]
	s_lshl_b64 s[8:9], s[88:89], 3
	s_add_co_i32 s83, s88, -1
	s_add_nc_u64 s[96:97], s[54:55], s[8:9]
	v_cmp_lt_u32_e64 s8, 2, v53
	s_sub_co_i32 s87, s86, s84
	s_mov_b32 s104, 0
	s_sub_co_i32 s89, 0, s84
	s_mul_i32 vcc_hi, s29, s25
	s_mov_b32 s98, s25
	v_ashrrev_i32_e32 v27, 31, v26
	s_delay_alu instid0(VALU_DEP_1) | instskip(SKIP_1) | instid1(VALU_DEP_2)
	v_lshlrev_b64_e32 v[28:29], 3, v[26:27]
	v_mul_f64_e32 v[24:25], v[18:19], v[24:25]
	v_add_nc_u64_e32 v[26:27], s[36:37], v[28:29]
	v_add_nc_u64_e32 v[28:29], s[38:39], v[28:29]
	s_branch .LBB2_27
.LBB2_26:                               ;   in Loop: Header=BB2_27 Depth=2
	s_mov_b32 s10, s98
                                        ; implicit-def: $sgpr104
                                        ; implicit-def: $vcc_hi
	s_and_b32 vcc_lo, exec_lo, s9
	s_cbranch_vccnz .LBB2_15
.LBB2_27:                               ;   Parent Loop BB2_17 Depth=1
                                        ; =>  This Loop Header: Depth=2
                                        ;       Child Loop BB2_37 Depth 3
                                        ;       Child Loop BB2_40 Depth 3
	;; [unrolled: 1-line block ×5, first 2 shown]
                                        ;         Child Loop BB2_112 Depth 4
                                        ;         Child Loop BB2_115 Depth 4
	;; [unrolled: 1-line block ×4, first 2 shown]
                                        ;           Child Loop BB2_131 Depth 5
                                        ;         Child Loop BB2_145 Depth 4
                                        ;           Child Loop BB2_146 Depth 5
                                        ;           Child Loop BB2_148 Depth 5
                                        ;         Child Loop BB2_153 Depth 4
                                        ;       Child Loop BB2_196 Depth 3
                                        ;       Child Loop BB2_235 Depth 3
	;; [unrolled: 1-line block ×4, first 2 shown]
	v_mov_b32_e32 v30, s98
	s_mov_b32 s9, -1
	global_load_b32 v30, v30, s[12:13] scale_offset
	s_wait_loadcnt 0x0
	v_add_nc_u32_e32 v30, -1, v30
	s_delay_alu instid0(VALU_DEP_1)
	v_cmp_ne_u32_e32 vcc_lo, s82, v30
	s_cbranch_vccnz .LBB2_26
; %bb.28:                               ;   in Loop: Header=BB2_27 Depth=2
	s_ashr_i32 s99, s98, 31
	s_and_b32 vcc_lo, exec_lo, s45
	s_lshl_b64 s[18:19], s[98:99], 3
	s_delay_alu instid0(SALU_CYCLE_1)
	s_add_nc_u64 s[18:19], s[40:41], s[18:19]
	global_load_b64 v[30:31], v3, s[18:19]
	s_cbranch_vccz .LBB2_32
; %bb.29:                               ;   in Loop: Header=BB2_27 Depth=2
	s_wait_xcnt 0x0
	s_and_saveexec_b32 s9, s2
	s_cbranch_execz .LBB2_31
; %bb.30:                               ;   in Loop: Header=BB2_27 Depth=2
	global_store_b64 v3, v[14:15], s[48:49]
.LBB2_31:                               ;   in Loop: Header=BB2_27 Depth=2
	s_wait_xcnt 0x0
	s_or_b32 exec_lo, exec_lo, s9
	s_wait_storecnt 0x0
	s_wait_loadcnt_dscnt 0x0
	s_barrier_signal -1
	s_mov_b32 s9, 0
	s_barrier_wait -1
.LBB2_32:                               ;   in Loop: Header=BB2_27 Depth=2
	s_and_b32 vcc_lo, exec_lo, s9
	s_cbranch_vccz .LBB2_67
; %bb.33:                               ;   in Loop: Header=BB2_27 Depth=2
	s_cmp_lg_u32 s104, 0
	s_cselect_b32 s99, -1, 0
	s_cmp_eq_u32 s104, 0
	s_cbranch_scc1 .LBB2_35
; %bb.34:                               ;   in Loop: Header=BB2_27 Depth=2
	s_wait_loadcnt 0x0
	v_mul_f64_e32 v[34:35], s[20:21], v[30:31]
	v_add_f64_e64 v[38:39], v[30:31], -v[32:33]
	s_delay_alu instid0(VALU_DEP_2) | instskip(SKIP_1) | instid1(VALU_DEP_2)
	v_mul_f64_e64 v[36:37], 0x40240000, |v[34:35]|
	v_fma_f64 v[34:35], 0x40240000, |v[34:35]|, v[32:33]
	v_cmp_lt_f64_e32 vcc_lo, v[38:39], v[36:37]
	s_delay_alu instid0(VALU_DEP_2)
	v_dual_cndmask_b32 v31, v31, v35 :: v_dual_cndmask_b32 v30, v30, v34
.LBB2_35:                               ;   in Loop: Header=BB2_27 Depth=2
	s_wait_xcnt 0x0
	s_and_saveexec_b32 s9, s5
	s_cbranch_execz .LBB2_38
; %bb.36:                               ;   in Loop: Header=BB2_27 Depth=2
	s_mul_i32 s10, s82, s44
	s_delay_alu instid0(SALU_CYCLE_1) | instskip(NEXT) | instid1(SALU_CYCLE_1)
	s_add_co_i32 s10, s98, s10
	v_lshl_or_b32 v36, s10, 8, v0
	s_mov_b32 s10, 0
	s_delay_alu instid0(VALU_DEP_1) | instskip(SKIP_1) | instid1(VALU_DEP_2)
	v_add_nc_u32_e32 v34, 1, v36
	v_sub_nc_u32_e32 v38, 0x7ffffffe, v36
	v_mul_hi_i32 v35, 0x40000001, v34
	s_delay_alu instid0(VALU_DEP_2) | instskip(NEXT) | instid1(VALU_DEP_2)
	v_cmp_gt_u32_e32 vcc_lo, 0x7fffff07, v38
	v_dual_lshrrev_b32 v37, 31, v35 :: v_dual_ashrrev_i32 v35, 29, v35
	s_delay_alu instid0(VALU_DEP_1) | instskip(SKIP_1) | instid1(VALU_DEP_1)
	v_add_nc_u32_e32 v35, v35, v37
	v_sub_nc_u32_e32 v37, 0xf7, v36
	v_max_u32_e32 v37, 1, v37
	s_delay_alu instid0(VALU_DEP_1) | instskip(SKIP_1) | instid1(VALU_DEP_2)
	v_cndmask_b32_e32 v37, v37, v38, vcc_lo
	v_cmp_ne_u32_e32 vcc_lo, 0x7ffffffe, v36
	v_dual_mov_b32 v36, v0 :: v_dual_cndmask_b32 v37, 1, v37
	v_mul_lo_u32 v35, 0x7fffffff, v35
	s_delay_alu instid0(VALU_DEP_1) | instskip(SKIP_1) | instid1(VALU_DEP_2)
	v_sub_nc_u32_e32 v38, v34, v35
	v_mov_b64_e32 v[34:35], v[8:9]
	v_max_i32_e32 v38, 1, v38
.LBB2_37:                               ;   Parent Loop BB2_17 Depth=1
                                        ;     Parent Loop BB2_27 Depth=2
                                        ; =>    This Inner Loop Header: Depth=3
	s_delay_alu instid0(VALU_DEP_1) | instskip(SKIP_2) | instid1(VALU_DEP_3)
	v_mul_hi_i32 v39, 0x5e4789c9, v38
	v_mul_hi_i32 v40, 0x4f7a09cd, v37
	v_add_nc_u32_e32 v36, 0x100, v36
	v_dual_lshrrev_b32 v41, 31, v39 :: v_dual_ashrrev_i32 v39, 14, v39
	s_delay_alu instid0(VALU_DEP_3) | instskip(NEXT) | instid1(VALU_DEP_1)
	v_dual_lshrrev_b32 v42, 31, v40 :: v_dual_ashrrev_i32 v40, 14, v40
	v_dual_add_nc_u32 v39, v39, v41 :: v_dual_add_nc_u32 v40, v40, v42
	s_delay_alu instid0(VALU_DEP_1) | instskip(SKIP_1) | instid1(VALU_DEP_3)
	v_mul_i32_i24_e32 v41, 0xadc8, v39
	v_mul_i32_i24_e32 v39, 0xfffff2b9, v39
	;; [unrolled: 1-line block ×4, first 2 shown]
	s_delay_alu instid0(VALU_DEP_2) | instskip(NEXT) | instid1(VALU_DEP_1)
	v_dual_sub_nc_u32 v38, v38, v41 :: v_dual_sub_nc_u32 v37, v37, v42
	v_mad_u32 v38, 0xbc8f, v38, v39
	s_delay_alu instid0(VALU_DEP_2) | instskip(NEXT) | instid1(VALU_DEP_1)
	v_mad_u32 v37, 0x9ef4, v37, v40
	v_dual_ashrrev_i32 v39, 31, v38 :: v_dual_ashrrev_i32 v40, 31, v37
	s_delay_alu instid0(VALU_DEP_1) | instskip(NEXT) | instid1(VALU_DEP_2)
	v_and_b32_e32 v39, 0x7fffffff, v39
	v_and_b32_e32 v40, 0x7fffff07, v40
	s_delay_alu instid0(VALU_DEP_1) | instskip(NEXT) | instid1(VALU_DEP_1)
	v_dual_add_nc_u32 v38, v39, v38 :: v_dual_add_nc_u32 v37, v40, v37
	v_sub_nc_u32_e32 v39, v38, v37
	s_delay_alu instid0(VALU_DEP_1) | instskip(NEXT) | instid1(VALU_DEP_1)
	v_ashrrev_i32_e32 v40, 31, v39
	v_and_b32_e32 v40, 0x7fffffff, v40
	s_delay_alu instid0(VALU_DEP_1) | instskip(NEXT) | instid1(VALU_DEP_1)
	v_add_nc_u32_e32 v39, v40, v39
	v_cvt_f64_i32_e32 v[40:41], v39
	s_delay_alu instid0(VALU_DEP_1) | instskip(SKIP_1) | instid1(VALU_DEP_2)
	v_div_scale_f64 v[42:43], null, s[78:79], s[78:79], v[40:41]
	v_div_scale_f64 v[48:49], vcc_lo, v[40:41], s[78:79], v[40:41]
	v_rcp_f64_e32 v[44:45], v[42:43]
	v_nop
	s_delay_alu instid0(TRANS32_DEP_1) | instskip(NEXT) | instid1(VALU_DEP_1)
	v_fma_f64 v[46:47], -v[42:43], v[44:45], 1.0
	v_fmac_f64_e32 v[44:45], v[44:45], v[46:47]
	s_delay_alu instid0(VALU_DEP_1) | instskip(NEXT) | instid1(VALU_DEP_1)
	v_fma_f64 v[46:47], -v[42:43], v[44:45], 1.0
	v_fmac_f64_e32 v[44:45], v[44:45], v[46:47]
	s_delay_alu instid0(VALU_DEP_1) | instskip(NEXT) | instid1(VALU_DEP_1)
	v_mul_f64_e32 v[46:47], v[48:49], v[44:45]
	v_fma_f64 v[42:43], -v[42:43], v[46:47], v[48:49]
	s_delay_alu instid0(VALU_DEP_1) | instskip(SKIP_2) | instid1(VALU_DEP_2)
	v_div_fmas_f64 v[42:43], v[42:43], v[44:45], v[46:47]
	v_cmp_lt_i32_e32 vcc_lo, s88, v36
	s_or_b32 s10, vcc_lo, s10
	v_div_fixup_f64 v[40:41], v[42:43], s[78:79], v[40:41]
	global_store_b64 v[34:35], v[40:41], off
	s_wait_xcnt 0x0
	v_add_nc_u64_e32 v[34:35], 0x800, v[34:35]
	s_and_not1_b32 exec_lo, exec_lo, s10
	s_cbranch_execnz .LBB2_37
.LBB2_38:                               ;   in Loop: Header=BB2_27 Depth=2
	s_or_b32 exec_lo, exec_lo, s9
	s_and_saveexec_b32 s9, s6
	s_cbranch_execz .LBB2_41
; %bb.39:                               ;   in Loop: Header=BB2_27 Depth=2
	v_mov_b64_e32 v[34:35], v[28:29]
	v_mov_b64_e32 v[36:37], v[26:27]
	;; [unrolled: 1-line block ×4, first 2 shown]
	v_mov_b32_e32 v42, v0
	s_mov_b32 s10, 0
.LBB2_40:                               ;   Parent Loop BB2_17 Depth=1
                                        ;     Parent Loop BB2_27 Depth=2
                                        ; =>    This Inner Loop Header: Depth=3
	global_load_b64 v[44:45], v[36:37], off
	v_add_nc_u32_e32 v43, s28, v42
	v_add_nc_u32_e32 v42, 0x100, v42
	s_wait_xcnt 0x0
	v_add_nc_u64_e32 v[36:37], 0x800, v[36:37]
	s_delay_alu instid0(VALU_DEP_2)
	v_cmp_le_i32_e32 vcc_lo, s88, v42
	s_or_b32 s10, vcc_lo, s10
	s_wait_loadcnt 0x0
	global_store_b64 v[40:41], v[44:45], off
	global_load_b64 v[44:45], v[34:35], off
	v_add_nc_u64_e32 v[40:41], 0x800, v[40:41]
	s_wait_xcnt 0x0
	v_add_nc_u64_e32 v[34:35], 0x800, v[34:35]
	s_wait_loadcnt 0x0
	global_store_b64 v43, v[44:45], s[48:49] scale_offset
	global_store_b64 v[38:39], v[44:45], off
	s_wait_xcnt 0x0
	v_add_nc_u64_e32 v[38:39], 0x800, v[38:39]
	s_and_not1_b32 exec_lo, exec_lo, s10
	s_cbranch_execnz .LBB2_40
.LBB2_41:                               ;   in Loop: Header=BB2_27 Depth=2
	s_or_b32 exec_lo, exec_lo, s9
	s_and_saveexec_b32 s9, s2
	s_cbranch_execz .LBB2_43
; %bb.42:                               ;   in Loop: Header=BB2_27 Depth=2
	global_load_b64 v[34:35], v3, s[90:91] offset:-8
	s_wait_loadcnt 0x0
	global_store_b64 v3, v[34:35], s[92:93]
.LBB2_43:                               ;   in Loop: Header=BB2_27 Depth=2
	s_wait_xcnt 0x0
	s_or_b32 exec_lo, exec_lo, s9
	s_wait_storecnt 0x0
	s_wait_loadcnt_dscnt 0x0
	s_barrier_signal -1
	s_barrier_wait -1
	s_and_saveexec_b32 s9, s2
	s_cbranch_execz .LBB2_71
; %bb.44:                               ;   in Loop: Header=BB2_27 Depth=2
	global_load_b64 v[34:35], v3, s[54:55]
	s_mov_b32 s10, 1
	s_mov_b64 s[100:101], s[72:73]
	s_mov_b64 s[102:103], s[70:71]
	;; [unrolled: 1-line block ×5, first 2 shown]
	global_store_b32 v3, v3, s[94:95]
	s_wait_loadcnt 0x0
	v_add_f64_e64 v[34:35], v[34:35], -v[30:31]
	s_clause 0x1
	global_store_b64 v3, v[34:35], s[54:55]
	global_load_b64 v[36:37], v3, s[56:57] offset:8
	s_wait_loadcnt 0x0
	s_wait_xcnt 0x1
	v_add_f64_e64 v[34:35], |v[34:35]|, |v[36:37]|
	s_branch .LBB2_46
.LBB2_45:                               ;   in Loop: Header=BB2_46 Depth=3
	s_add_co_i32 s10, s10, 1
	s_add_nc_u64 s[66:67], s[66:67], 8
	s_add_nc_u64 s[68:69], s[68:69], 8
	s_wait_xcnt 0x0
	s_add_nc_u64 s[18:19], s[18:19], 4
	s_add_nc_u64 s[102:103], s[102:103], 8
	s_cmp_eq_u32 s87, s10
	s_add_nc_u64 s[100:101], s[100:101], 8
	s_cbranch_scc1 .LBB2_68
.LBB2_46:                               ;   Parent Loop BB2_17 Depth=1
                                        ;     Parent Loop BB2_27 Depth=2
                                        ; =>    This Inner Loop Header: Depth=3
	s_add_nc_u64 s[76:77], s[16:17], s[100:101]
	s_add_nc_u64 s[30:31], s[16:17], s[102:103]
	global_load_b64 v[36:37], v3, s[76:77]
	s_add_co_i32 s27, s10, -1
	s_add_nc_u64 s[42:43], s[16:17], s[66:67]
	s_cmp_lt_u32 s27, s83
	s_cselect_b32 s26, -1, 0
	s_cmp_ge_u32 s27, s83
	s_wait_loadcnt 0x0
	v_add_f64_e64 v[40:41], v[36:37], -v[30:31]
	s_clause 0x1
	global_store_b64 v3, v[40:41], s[76:77]
	global_load_b64 v[42:43], v3, s[30:31]
	s_wait_loadcnt 0x0
	v_add_f64_e64 v[36:37], |v[40:41]|, |v[42:43]|
	s_cbranch_scc1 .LBB2_48
; %bb.47:                               ;   in Loop: Header=BB2_46 Depth=3
	global_load_b64 v[38:39], v3, s[42:43] offset:16
	s_wait_loadcnt 0x0
	v_add_f64_e64 v[36:37], v[36:37], |v[38:39]|
.LBB2_48:                               ;   in Loop: Header=BB2_46 Depth=3
	global_load_b64 v[46:47], v3, s[76:77] offset:-8
	s_wait_loadcnt 0x0
	v_cmp_eq_f64_e32 vcc_lo, 0, v[46:47]
	s_cbranch_vccnz .LBB2_59
; %bb.49:                               ;   in Loop: Header=BB2_46 Depth=3
	v_and_b32_e32 v39, 0x7fffffff, v47
	v_mov_b32_e32 v38, v46
	s_delay_alu instid0(VALU_DEP_1) | instskip(SKIP_1) | instid1(VALU_DEP_2)
	v_div_scale_f64 v[44:45], null, v[34:35], v[34:35], v[38:39]
	v_div_scale_f64 v[38:39], vcc_lo, v[38:39], v[34:35], v[38:39]
	v_rcp_f64_e32 v[48:49], v[44:45]
	v_nop
	s_delay_alu instid0(TRANS32_DEP_1) | instskip(NEXT) | instid1(VALU_DEP_1)
	v_fma_f64 v[54:55], -v[44:45], v[48:49], 1.0
	v_fmac_f64_e32 v[48:49], v[48:49], v[54:55]
	s_delay_alu instid0(VALU_DEP_1) | instskip(NEXT) | instid1(VALU_DEP_1)
	v_fma_f64 v[54:55], -v[44:45], v[48:49], 1.0
	v_fmac_f64_e32 v[48:49], v[48:49], v[54:55]
	s_delay_alu instid0(VALU_DEP_1) | instskip(NEXT) | instid1(VALU_DEP_1)
	v_mul_f64_e32 v[54:55], v[38:39], v[48:49]
	v_fma_f64 v[38:39], -v[44:45], v[54:55], v[38:39]
	s_delay_alu instid0(VALU_DEP_1) | instskip(NEXT) | instid1(VALU_DEP_1)
	v_div_fmas_f64 v[38:39], v[38:39], v[48:49], v[54:55]
	v_div_fixup_f64 v[38:39], v[38:39], v[34:35], |v[46:47]|
	v_cmp_neq_f64_e32 vcc_lo, 0, v[42:43]
	s_cbranch_vccz .LBB2_60
.LBB2_50:                               ;   in Loop: Header=BB2_46 Depth=3
	v_and_b32_e32 v45, 0x7fffffff, v43
	v_mov_b32_e32 v44, v42
	s_mov_b32 s27, -1
	s_delay_alu instid0(VALU_DEP_1) | instskip(SKIP_1) | instid1(VALU_DEP_2)
	v_div_scale_f64 v[48:49], null, v[36:37], v[36:37], v[44:45]
	v_div_scale_f64 v[44:45], vcc_lo, v[44:45], v[36:37], v[44:45]
	v_rcp_f64_e32 v[54:55], v[48:49]
	v_nop
	s_delay_alu instid0(TRANS32_DEP_1) | instskip(NEXT) | instid1(VALU_DEP_1)
	v_fma_f64 v[56:57], -v[48:49], v[54:55], 1.0
	v_fmac_f64_e32 v[54:55], v[54:55], v[56:57]
	s_delay_alu instid0(VALU_DEP_1) | instskip(NEXT) | instid1(VALU_DEP_1)
	v_fma_f64 v[56:57], -v[48:49], v[54:55], 1.0
	v_fmac_f64_e32 v[54:55], v[54:55], v[56:57]
	s_delay_alu instid0(VALU_DEP_1) | instskip(NEXT) | instid1(VALU_DEP_1)
	v_mul_f64_e32 v[56:57], v[44:45], v[54:55]
	v_fma_f64 v[44:45], -v[48:49], v[56:57], v[44:45]
	s_delay_alu instid0(VALU_DEP_1) | instskip(NEXT) | instid1(VALU_DEP_1)
	v_div_fmas_f64 v[44:45], v[44:45], v[54:55], v[56:57]
	v_div_fixup_f64 v[44:45], v[44:45], v[36:37], |v[42:43]|
	s_delay_alu instid0(VALU_DEP_1)
	v_cmp_nle_f64_e32 vcc_lo, v[44:45], v[38:39]
	s_cbranch_vccnz .LBB2_54
; %bb.51:                               ;   in Loop: Header=BB2_46 Depth=3
	v_div_scale_f64 v[48:49], null, v[46:47], v[46:47], v[42:43]
	v_div_scale_f64 v[58:59], vcc_lo, v[42:43], v[46:47], v[42:43]
	s_delay_alu instid0(VALU_DEP_2) | instskip(SKIP_1) | instid1(TRANS32_DEP_1)
	v_rcp_f64_e32 v[54:55], v[48:49]
	v_nop
	v_fma_f64 v[56:57], -v[48:49], v[54:55], 1.0
	s_delay_alu instid0(VALU_DEP_1) | instskip(NEXT) | instid1(VALU_DEP_1)
	v_fmac_f64_e32 v[54:55], v[54:55], v[56:57]
	v_fma_f64 v[56:57], -v[48:49], v[54:55], 1.0
	s_delay_alu instid0(VALU_DEP_1) | instskip(NEXT) | instid1(VALU_DEP_1)
	v_fmac_f64_e32 v[54:55], v[54:55], v[56:57]
	v_mul_f64_e32 v[56:57], v[58:59], v[54:55]
	s_delay_alu instid0(VALU_DEP_1) | instskip(NEXT) | instid1(VALU_DEP_1)
	v_fma_f64 v[48:49], -v[48:49], v[56:57], v[58:59]
	v_div_fmas_f64 v[48:49], v[48:49], v[54:55], v[56:57]
	s_and_not1_b32 vcc_lo, exec_lo, s26
	s_delay_alu instid0(VALU_DEP_1)
	v_div_fixup_f64 v[48:49], v[48:49], v[46:47], v[42:43]
	s_clause 0x2
	global_store_b64 v3, v[48:49], s[30:31]
	global_load_b64 v[54:55], v3, s[76:77]
	global_load_b64 v[56:57], v3, s[42:43] offset:8
	s_wait_loadcnt 0x0
	s_wait_xcnt 0x2
	v_fma_f64 v[48:49], -v[48:49], v[56:57], v[54:55]
	s_clause 0x1
	global_store_b32 v3, v3, s[18:19]
	global_store_b64 v3, v[48:49], s[76:77]
	s_cbranch_vccnz .LBB2_53
; %bb.52:                               ;   in Loop: Header=BB2_46 Depth=3
	s_add_nc_u64 s[38:39], s[16:17], s[68:69]
	global_store_b64 v3, v[16:17], s[38:39]
.LBB2_53:                               ;   in Loop: Header=BB2_46 Depth=3
	s_mov_b32 s27, 0
.LBB2_54:                               ;   in Loop: Header=BB2_46 Depth=3
	s_wait_xcnt 0x0
	v_mov_b64_e32 v[48:49], v[36:37]
	s_and_not1_b32 vcc_lo, exec_lo, s27
	s_cbranch_vccnz .LBB2_58
; %bb.55:                               ;   in Loop: Header=BB2_46 Depth=3
	v_div_scale_f64 v[48:49], null, v[42:43], v[42:43], v[46:47]
	s_clause 0x1
	global_store_b64 v3, v[42:43], s[76:77] offset:-8
	global_load_b64 v[54:55], v3, s[42:43] offset:8
	v_rcp_f64_e32 v[56:57], v[48:49]
	v_nop
	s_delay_alu instid0(TRANS32_DEP_1) | instskip(NEXT) | instid1(VALU_DEP_1)
	v_fma_f64 v[58:59], -v[48:49], v[56:57], 1.0
	v_fmac_f64_e32 v[56:57], v[56:57], v[58:59]
	s_delay_alu instid0(VALU_DEP_1) | instskip(NEXT) | instid1(VALU_DEP_1)
	v_fma_f64 v[58:59], -v[48:49], v[56:57], 1.0
	v_fmac_f64_e32 v[56:57], v[56:57], v[58:59]
	v_div_scale_f64 v[58:59], vcc_lo, v[46:47], v[42:43], v[46:47]
	s_delay_alu instid0(VALU_DEP_1) | instskip(NEXT) | instid1(VALU_DEP_1)
	v_mul_f64_e32 v[60:61], v[58:59], v[56:57]
	v_fma_f64 v[48:49], -v[48:49], v[60:61], v[58:59]
	s_delay_alu instid0(VALU_DEP_1) | instskip(SKIP_2) | instid1(VALU_DEP_1)
	v_div_fmas_f64 v[48:49], v[48:49], v[56:57], v[60:61]
	s_and_not1_b32 vcc_lo, exec_lo, s26
	s_wait_xcnt 0x1
	v_div_fixup_f64 v[42:43], v[48:49], v[42:43], v[46:47]
	s_wait_loadcnt 0x0
	s_delay_alu instid0(VALU_DEP_1)
	v_fma_f64 v[46:47], -v[40:41], v[42:43], v[54:55]
	s_clause 0x1
	global_store_b32 v3, v2, s[18:19]
	global_store_b64 v3, v[46:47], s[76:77]
	s_cbranch_vccnz .LBB2_57
; %bb.56:                               ;   in Loop: Header=BB2_46 Depth=3
	global_load_b64 v[46:47], v3, s[42:43] offset:16
	s_add_nc_u64 s[38:39], s[16:17], s[68:69]
	s_wait_loadcnt 0x0
	v_mul_f64_e64 v[48:49], v[46:47], -v[42:43]
	s_clause 0x1
	global_store_b64 v3, v[46:47], s[38:39]
	global_store_b64 v3, v[48:49], s[42:43] offset:16
.LBB2_57:                               ;   in Loop: Header=BB2_46 Depth=3
	s_wait_xcnt 0x0
	v_mov_b64_e32 v[48:49], v[34:35]
	s_clause 0x1
	global_store_b64 v3, v[40:41], s[42:43] offset:8
	global_store_b64 v3, v[42:43], s[30:31]
.LBB2_58:                               ;   in Loop: Header=BB2_46 Depth=3
	s_delay_alu instid0(VALU_DEP_1)
	v_mov_b64_e32 v[34:35], v[48:49]
	s_cbranch_execz .LBB2_61
	s_branch .LBB2_64
.LBB2_59:                               ;   in Loop: Header=BB2_46 Depth=3
	v_mov_b64_e32 v[38:39], 0
	v_cmp_neq_f64_e32 vcc_lo, 0, v[42:43]
	s_cbranch_vccnz .LBB2_50
.LBB2_60:                               ;   in Loop: Header=BB2_46 Depth=3
                                        ; implicit-def: $vgpr44_vgpr45
                                        ; implicit-def: $vgpr34_vgpr35
.LBB2_61:                               ;   in Loop: Header=BB2_46 Depth=3
	s_and_not1_b32 vcc_lo, exec_lo, s26
	global_store_b32 v3, v3, s[18:19]
	s_cbranch_vccnz .LBB2_63
; %bb.62:                               ;   in Loop: Header=BB2_46 Depth=3
	s_add_nc_u64 s[26:27], s[16:17], s[68:69]
	global_store_b64 v3, v[16:17], s[26:27]
.LBB2_63:                               ;   in Loop: Header=BB2_46 Depth=3
	v_mov_b64_e32 v[44:45], 0
	v_mov_b64_e32 v[34:35], v[36:37]
.LBB2_64:                               ;   in Loop: Header=BB2_46 Depth=3
	s_delay_alu instid0(VALU_DEP_2) | instskip(SKIP_1) | instid1(VALU_DEP_1)
	v_max_num_f64_e32 v[36:37], v[44:45], v[44:45]
	v_max_num_f64_e32 v[38:39], v[38:39], v[38:39]
	;; [unrolled: 1-line block ×3, first 2 shown]
	s_delay_alu instid0(VALU_DEP_1)
	v_cmp_nle_f64_e32 vcc_lo, v[36:37], v[4:5]
	s_cbranch_vccnz .LBB2_45
; %bb.65:                               ;   in Loop: Header=BB2_46 Depth=3
	global_load_b32 v36, v3, s[94:95]
	s_wait_loadcnt 0x0
	v_cmp_ne_u32_e32 vcc_lo, 0, v36
	s_cbranch_vccnz .LBB2_45
; %bb.66:                               ;   in Loop: Header=BB2_46 Depth=3
	v_mov_b32_e32 v36, s10
	global_store_b32 v3, v36, s[94:95]
	s_branch .LBB2_45
.LBB2_67:                               ;   in Loop: Header=BB2_27 Depth=2
	s_wait_loadcnt 0x0
	v_mov_b64_e32 v[32:33], v[30:31]
	s_wait_storecnt_dscnt 0x0
	s_wait_xcnt 0x0
	s_and_saveexec_b32 s10, s4
	s_cbranch_execnz .LBB2_253
	s_branch .LBB2_257
.LBB2_68:                               ;   in Loop: Header=BB2_27 Depth=2
	global_load_b64 v[36:37], v3, s[96:97]
	v_mul_f64_e32 v[34:35], v[4:5], v[34:35]
	s_wait_loadcnt 0x0
	s_delay_alu instid0(VALU_DEP_1)
	v_cmp_le_f64_e64 s10, |v[36:37]|, v[34:35]
	s_and_b32 vcc_lo, exec_lo, s10
	s_cbranch_vccz .LBB2_71
; %bb.69:                               ;   in Loop: Header=BB2_27 Depth=2
	global_load_b32 v34, v3, s[94:95]
	s_wait_loadcnt 0x0
	v_cmp_ne_u32_e32 vcc_lo, 0, v34
	s_cbranch_vccnz .LBB2_71
; %bb.70:                               ;   in Loop: Header=BB2_27 Depth=2
	global_store_b32 v3, v53, s[94:95]
.LBB2_71:                               ;   in Loop: Header=BB2_27 Depth=2
	s_wait_xcnt 0x0
	s_or_b32 exec_lo, exec_lo, s9
	v_add_f64_e64 v[32:33], v[30:31], -v[32:33]
	s_mov_b32 s67, 0
	s_mov_b32 s68, 0
	s_delay_alu instid0(VALU_DEP_1)
	v_cmp_gt_f64_e64 s66, |v[32:33]|, v[22:23]
	v_mov_b64_e32 v[32:33], 0
	v_bfrev_b32_e32 v36, -2
	s_and_saveexec_b32 s10, s7
	s_cbranch_execz .LBB2_75
.LBB2_72:                               ;   in Loop: Header=BB2_27 Depth=2
	v_mov_b64_e32 v[32:33], 0
	v_mov_b64_e32 v[34:35], v[8:9]
	v_bfrev_b32_e32 v36, -2
	v_mov_b32_e32 v37, v0
	s_mov_b32 s18, 0
.LBB2_73:                               ;   Parent Loop BB2_17 Depth=1
                                        ;     Parent Loop BB2_27 Depth=2
                                        ; =>    This Inner Loop Header: Depth=3
	global_load_b64 v[38:39], v[34:35], off
	v_cmp_eq_u32_e32 vcc_lo, 0x7fffffff, v36
	s_wait_xcnt 0x0
	v_add_nc_u64_e32 v[34:35], 0x800, v[34:35]
	s_wait_loadcnt 0x0
	v_cmp_lt_f64_e64 s19, v[32:33], |v[38:39]|
	v_and_b32_e32 v39, 0x7fffffff, v39
	s_or_b32 vcc_lo, s19, vcc_lo
	s_delay_alu instid0(VALU_DEP_1) | instskip(SKIP_1) | instid1(VALU_DEP_2)
	v_dual_cndmask_b32 v33, v33, v39 :: v_dual_add_nc_u32 v40, 1, v37
	v_dual_cndmask_b32 v32, v32, v38 :: v_dual_add_nc_u32 v37, 0x100, v37
	v_cndmask_b32_e32 v36, v36, v40, vcc_lo
	s_delay_alu instid0(VALU_DEP_2) | instskip(SKIP_1) | instid1(SALU_CYCLE_1)
	v_cmp_ge_u32_e64 s9, v37, v53
	s_or_b32 s18, s9, s18
	s_and_not1_b32 exec_lo, exec_lo, s18
	s_cbranch_execnz .LBB2_73
; %bb.74:                               ;   in Loop: Header=BB2_27 Depth=2
	s_or_b32 exec_lo, exec_lo, s18
.LBB2_75:                               ;   Parent Loop BB2_17 Depth=1
                                        ;     Parent Loop BB2_27 Depth=2
                                        ; =>    This Loop Header: Depth=3
                                        ;         Child Loop BB2_112 Depth 4
                                        ;         Child Loop BB2_115 Depth 4
	;; [unrolled: 1-line block ×4, first 2 shown]
                                        ;           Child Loop BB2_131 Depth 5
                                        ;         Child Loop BB2_145 Depth 4
                                        ;           Child Loop BB2_146 Depth 5
                                        ;           Child Loop BB2_148 Depth 5
                                        ;         Child Loop BB2_153 Depth 4
	s_delay_alu instid0(SALU_CYCLE_1)
	s_or_b32 exec_lo, exec_lo, s10
	ds_store_b64 v50, v[32:33]
	ds_store_b32 v51, v36 offset:4096
	s_wait_storecnt_dscnt 0x0
	s_barrier_signal -1
	s_barrier_wait -1
	s_and_saveexec_b32 s10, s0
	s_cbranch_execz .LBB2_81
; %bb.76:                               ;   in Loop: Header=BB2_75 Depth=3
	ds_load_b64 v[34:35], v50 offset:1024
	ds_load_b32 v37, v51 offset:4608
	s_mov_b32 s19, exec_lo
	s_wait_dscnt 0x1
	v_cmp_lt_f64_e64 s18, v[32:33], v[34:35]
	v_cmpx_nlt_f64_e32 v[32:33], v[34:35]
	s_cbranch_execz .LBB2_78
; %bb.77:                               ;   in Loop: Header=BB2_75 Depth=3
	v_cmp_eq_f64_e32 vcc_lo, v[32:33], v[34:35]
	s_wait_dscnt 0x0
	v_cmp_gt_i32_e64 s9, v36, v37
	s_and_not1_b32 s18, s18, exec_lo
	s_and_b32 s9, vcc_lo, s9
	s_delay_alu instid0(SALU_CYCLE_1) | instskip(NEXT) | instid1(SALU_CYCLE_1)
	s_and_b32 s9, s9, exec_lo
	s_or_b32 s18, s18, s9
.LBB2_78:                               ;   in Loop: Header=BB2_75 Depth=3
	s_or_b32 exec_lo, exec_lo, s19
	s_and_saveexec_b32 s9, s18
	s_cbranch_execz .LBB2_80
; %bb.79:                               ;   in Loop: Header=BB2_75 Depth=3
	v_mov_b64_e32 v[32:33], v[34:35]
	s_wait_dscnt 0x0
	v_mov_b32_e32 v36, v37
	ds_store_b64 v50, v[34:35]
	ds_store_b32 v51, v37 offset:4096
.LBB2_80:                               ;   in Loop: Header=BB2_75 Depth=3
	s_or_b32 exec_lo, exec_lo, s9
.LBB2_81:                               ;   in Loop: Header=BB2_75 Depth=3
	s_delay_alu instid0(SALU_CYCLE_1)
	s_or_b32 exec_lo, exec_lo, s10
	s_wait_dscnt 0x0
	s_barrier_signal -1
	s_barrier_wait -1
	s_and_saveexec_b32 s10, s1
	s_cbranch_execz .LBB2_87
; %bb.82:                               ;   in Loop: Header=BB2_75 Depth=3
	ds_load_b64 v[34:35], v50 offset:512
	ds_load_b32 v37, v51 offset:4352
	s_mov_b32 s19, exec_lo
	s_wait_dscnt 0x1
	v_cmp_lt_f64_e64 s18, v[32:33], v[34:35]
	v_cmpx_nlt_f64_e32 v[32:33], v[34:35]
	s_cbranch_execz .LBB2_84
; %bb.83:                               ;   in Loop: Header=BB2_75 Depth=3
	v_cmp_eq_f64_e32 vcc_lo, v[32:33], v[34:35]
	s_wait_dscnt 0x0
	v_cmp_gt_i32_e64 s9, v36, v37
	s_and_not1_b32 s18, s18, exec_lo
	s_and_b32 s9, vcc_lo, s9
	s_delay_alu instid0(SALU_CYCLE_1) | instskip(NEXT) | instid1(SALU_CYCLE_1)
	s_and_b32 s9, s9, exec_lo
	s_or_b32 s18, s18, s9
.LBB2_84:                               ;   in Loop: Header=BB2_75 Depth=3
	s_or_b32 exec_lo, exec_lo, s19
	s_and_saveexec_b32 s9, s18
	s_cbranch_execz .LBB2_86
; %bb.85:                               ;   in Loop: Header=BB2_75 Depth=3
	v_mov_b64_e32 v[32:33], v[34:35]
	s_wait_dscnt 0x0
	v_mov_b32_e32 v36, v37
	ds_store_b64 v50, v[34:35]
	ds_store_b32 v51, v37 offset:4096
.LBB2_86:                               ;   in Loop: Header=BB2_75 Depth=3
	s_or_b32 exec_lo, exec_lo, s9
.LBB2_87:                               ;   in Loop: Header=BB2_75 Depth=3
	s_delay_alu instid0(SALU_CYCLE_1)
	s_or_b32 exec_lo, exec_lo, s10
	s_wait_dscnt 0x0
	s_barrier_signal -1
	s_barrier_wait -1
	s_and_saveexec_b32 s18, s3
	s_cbranch_execz .LBB2_110
; %bb.88:                               ;   in Loop: Header=BB2_75 Depth=3
	ds_load_b64 v[34:35], v50 offset:256
	ds_load_b32 v37, v51 offset:4224
	s_mov_b32 s19, exec_lo
	s_wait_dscnt 0x1
	v_cmp_lt_f64_e64 s10, v[32:33], v[34:35]
	v_cmpx_nlt_f64_e32 v[32:33], v[34:35]
	s_cbranch_execz .LBB2_90
; %bb.89:                               ;   in Loop: Header=BB2_75 Depth=3
	v_cmp_eq_f64_e32 vcc_lo, v[32:33], v[34:35]
	s_wait_dscnt 0x0
	v_cmp_gt_i32_e64 s9, v36, v37
	s_and_not1_b32 s10, s10, exec_lo
	s_and_b32 s9, vcc_lo, s9
	s_delay_alu instid0(SALU_CYCLE_1) | instskip(NEXT) | instid1(SALU_CYCLE_1)
	s_and_b32 s9, s9, exec_lo
	s_or_b32 s10, s10, s9
.LBB2_90:                               ;   in Loop: Header=BB2_75 Depth=3
	s_or_b32 exec_lo, exec_lo, s19
	s_and_saveexec_b32 s9, s10
	s_cbranch_execz .LBB2_92
; %bb.91:                               ;   in Loop: Header=BB2_75 Depth=3
	v_mov_b64_e32 v[32:33], v[34:35]
	s_wait_dscnt 0x0
	v_mov_b32_e32 v36, v37
	ds_store_b64 v50, v[34:35]
	ds_store_b32 v51, v37 offset:4096
.LBB2_92:                               ;   in Loop: Header=BB2_75 Depth=3
	s_or_b32 exec_lo, exec_lo, s9
	ds_load_b64 v[34:35], v50 offset:128
	s_wait_dscnt 0x1
	ds_load_b32 v37, v51 offset:4160
	s_mov_b32 s19, exec_lo
	s_wait_dscnt 0x1
	v_cmp_lt_f64_e64 s10, v[32:33], v[34:35]
	v_cmpx_nlt_f64_e32 v[32:33], v[34:35]
	s_cbranch_execz .LBB2_94
; %bb.93:                               ;   in Loop: Header=BB2_75 Depth=3
	v_cmp_eq_f64_e32 vcc_lo, v[32:33], v[34:35]
	s_wait_dscnt 0x0
	v_cmp_gt_i32_e64 s9, v36, v37
	s_and_not1_b32 s10, s10, exec_lo
	s_and_b32 s9, vcc_lo, s9
	s_delay_alu instid0(SALU_CYCLE_1) | instskip(NEXT) | instid1(SALU_CYCLE_1)
	s_and_b32 s9, s9, exec_lo
	s_or_b32 s10, s10, s9
.LBB2_94:                               ;   in Loop: Header=BB2_75 Depth=3
	s_or_b32 exec_lo, exec_lo, s19
	s_and_saveexec_b32 s9, s10
	s_cbranch_execz .LBB2_96
; %bb.95:                               ;   in Loop: Header=BB2_75 Depth=3
	v_mov_b64_e32 v[32:33], v[34:35]
	s_wait_dscnt 0x0
	v_mov_b32_e32 v36, v37
	ds_store_b64 v50, v[34:35]
	ds_store_b32 v51, v37 offset:4096
.LBB2_96:                               ;   in Loop: Header=BB2_75 Depth=3
	s_or_b32 exec_lo, exec_lo, s9
	ds_load_b64 v[34:35], v50 offset:64
	s_wait_dscnt 0x1
	ds_load_b32 v37, v51 offset:4128
	s_mov_b32 s19, exec_lo
	s_wait_dscnt 0x1
	v_cmp_lt_f64_e64 s10, v[32:33], v[34:35]
	v_cmpx_nlt_f64_e32 v[32:33], v[34:35]
	s_cbranch_execz .LBB2_98
; %bb.97:                               ;   in Loop: Header=BB2_75 Depth=3
	v_cmp_eq_f64_e32 vcc_lo, v[32:33], v[34:35]
	s_wait_dscnt 0x0
	v_cmp_gt_i32_e64 s9, v36, v37
	s_and_not1_b32 s10, s10, exec_lo
	s_and_b32 s9, vcc_lo, s9
	s_delay_alu instid0(SALU_CYCLE_1) | instskip(NEXT) | instid1(SALU_CYCLE_1)
	s_and_b32 s9, s9, exec_lo
	s_or_b32 s10, s10, s9
.LBB2_98:                               ;   in Loop: Header=BB2_75 Depth=3
	s_or_b32 exec_lo, exec_lo, s19
	s_and_saveexec_b32 s9, s10
	s_cbranch_execz .LBB2_100
; %bb.99:                               ;   in Loop: Header=BB2_75 Depth=3
	v_mov_b64_e32 v[32:33], v[34:35]
	s_wait_dscnt 0x0
	v_mov_b32_e32 v36, v37
	ds_store_b64 v50, v[34:35]
	ds_store_b32 v51, v37 offset:4096
.LBB2_100:                              ;   in Loop: Header=BB2_75 Depth=3
	s_or_b32 exec_lo, exec_lo, s9
	ds_load_b64 v[34:35], v50 offset:32
	s_wait_dscnt 0x1
	ds_load_b32 v37, v51 offset:4112
	s_mov_b32 s19, exec_lo
	s_wait_dscnt 0x1
	v_cmp_lt_f64_e64 s10, v[32:33], v[34:35]
	v_cmpx_nlt_f64_e32 v[32:33], v[34:35]
	s_cbranch_execz .LBB2_102
; %bb.101:                              ;   in Loop: Header=BB2_75 Depth=3
	v_cmp_eq_f64_e32 vcc_lo, v[32:33], v[34:35]
	s_wait_dscnt 0x0
	v_cmp_gt_i32_e64 s9, v36, v37
	s_and_not1_b32 s10, s10, exec_lo
	s_and_b32 s9, vcc_lo, s9
	s_delay_alu instid0(SALU_CYCLE_1) | instskip(NEXT) | instid1(SALU_CYCLE_1)
	s_and_b32 s9, s9, exec_lo
	s_or_b32 s10, s10, s9
.LBB2_102:                              ;   in Loop: Header=BB2_75 Depth=3
	s_or_b32 exec_lo, exec_lo, s19
	s_and_saveexec_b32 s9, s10
	s_cbranch_execz .LBB2_104
; %bb.103:                              ;   in Loop: Header=BB2_75 Depth=3
	v_mov_b64_e32 v[32:33], v[34:35]
	s_wait_dscnt 0x0
	v_mov_b32_e32 v36, v37
	ds_store_b64 v50, v[34:35]
	ds_store_b32 v51, v37 offset:4096
.LBB2_104:                              ;   in Loop: Header=BB2_75 Depth=3
	s_or_b32 exec_lo, exec_lo, s9
	ds_load_b64 v[34:35], v50 offset:16
	s_wait_dscnt 0x1
	ds_load_b32 v37, v51 offset:4104
	s_mov_b32 s19, exec_lo
	s_wait_dscnt 0x1
	v_cmp_lt_f64_e64 s10, v[32:33], v[34:35]
	v_cmpx_nlt_f64_e32 v[32:33], v[34:35]
	s_cbranch_execz .LBB2_106
; %bb.105:                              ;   in Loop: Header=BB2_75 Depth=3
	v_cmp_eq_f64_e32 vcc_lo, v[32:33], v[34:35]
	s_wait_dscnt 0x0
	v_cmp_gt_i32_e64 s9, v36, v37
	s_and_not1_b32 s10, s10, exec_lo
	s_and_b32 s9, vcc_lo, s9
	s_delay_alu instid0(SALU_CYCLE_1) | instskip(NEXT) | instid1(SALU_CYCLE_1)
	s_and_b32 s9, s9, exec_lo
	s_or_b32 s10, s10, s9
.LBB2_106:                              ;   in Loop: Header=BB2_75 Depth=3
	s_or_b32 exec_lo, exec_lo, s19
	s_and_saveexec_b32 s9, s10
	s_cbranch_execz .LBB2_108
; %bb.107:                              ;   in Loop: Header=BB2_75 Depth=3
	v_mov_b64_e32 v[32:33], v[34:35]
	s_wait_dscnt 0x0
	v_mov_b32_e32 v36, v37
	ds_store_b64 v50, v[34:35]
	ds_store_b32 v51, v37 offset:4096
.LBB2_108:                              ;   in Loop: Header=BB2_75 Depth=3
	s_or_b32 exec_lo, exec_lo, s9
	ds_load_b64 v[34:35], v50 offset:8
	s_wait_dscnt 0x0
	v_cmp_eq_f64_e32 vcc_lo, v[32:33], v[34:35]
	v_cmp_lt_f64_e64 s9, v[32:33], v[34:35]
	ds_load_b32 v32, v51 offset:4100
	s_wait_dscnt 0x0
	v_cmp_gt_i32_e64 s10, v36, v32
	s_and_b32 s10, vcc_lo, s10
	s_delay_alu instid0(SALU_CYCLE_1) | instskip(NEXT) | instid1(SALU_CYCLE_1)
	s_or_b32 s9, s9, s10
	s_and_b32 exec_lo, exec_lo, s9
	s_cbranch_execz .LBB2_110
; %bb.109:                              ;   in Loop: Header=BB2_75 Depth=3
	ds_store_b64 v50, v[34:35]
	ds_store_b32 v51, v32 offset:4096
.LBB2_110:                              ;   in Loop: Header=BB2_75 Depth=3
	s_or_b32 exec_lo, exec_lo, s18
	s_wait_dscnt 0x0
	s_barrier_signal -1
	s_barrier_wait -1
	s_and_saveexec_b32 s9, s5
	s_cbranch_execz .LBB2_113
; %bb.111:                              ;   in Loop: Header=BB2_75 Depth=3
	global_load_b64 v[32:33], v3, s[92:93]
	s_mov_b32 s10, 0
	s_wait_loadcnt 0x0
	v_cmp_lt_f64_e64 vcc_lo, s[20:21], |v[32:33]|
	v_and_b32_e32 v34, 0x7fffffff, v33
	s_delay_alu instid0(VALU_DEP_1) | instskip(SKIP_4) | instid1(VALU_DEP_1)
	v_cndmask_b32_e32 v33, s21, v34, vcc_lo
	v_cndmask_b32_e32 v32, s20, v32, vcc_lo
	ds_load_b64 v[34:35], v52
	v_mul_f64_e32 v[32:33], v[24:25], v[32:33]
	s_wait_dscnt 0x0
	v_div_scale_f64 v[36:37], null, v[34:35], v[34:35], v[32:33]
	s_delay_alu instid0(VALU_DEP_1) | instskip(SKIP_1) | instid1(TRANS32_DEP_1)
	v_rcp_f64_e32 v[38:39], v[36:37]
	v_nop
	v_fma_f64 v[40:41], -v[36:37], v[38:39], 1.0
	s_delay_alu instid0(VALU_DEP_1) | instskip(NEXT) | instid1(VALU_DEP_1)
	v_fmac_f64_e32 v[38:39], v[38:39], v[40:41]
	v_fma_f64 v[40:41], -v[36:37], v[38:39], 1.0
	s_delay_alu instid0(VALU_DEP_1) | instskip(SKIP_1) | instid1(VALU_DEP_1)
	v_fmac_f64_e32 v[38:39], v[38:39], v[40:41]
	v_div_scale_f64 v[40:41], vcc_lo, v[32:33], v[34:35], v[32:33]
	v_mul_f64_e32 v[42:43], v[40:41], v[38:39]
	s_delay_alu instid0(VALU_DEP_1) | instskip(NEXT) | instid1(VALU_DEP_1)
	v_fma_f64 v[36:37], -v[36:37], v[42:43], v[40:41]
	v_div_fmas_f64 v[36:37], v[36:37], v[38:39], v[42:43]
	s_delay_alu instid0(VALU_DEP_1)
	v_div_fixup_f64 v[32:33], v[36:37], v[34:35], v[32:33]
	v_mov_b64_e32 v[34:35], v[8:9]
	v_mov_b32_e32 v36, v0
.LBB2_112:                              ;   Parent Loop BB2_17 Depth=1
                                        ;     Parent Loop BB2_27 Depth=2
                                        ;       Parent Loop BB2_75 Depth=3
                                        ; =>      This Inner Loop Header: Depth=4
	global_load_b64 v[38:39], v[34:35], off
	v_add_nc_u32_e32 v36, 0x100, v36
	s_delay_alu instid0(VALU_DEP_1)
	v_cmp_lt_i32_e32 vcc_lo, s88, v36
	s_or_b32 s10, vcc_lo, s10
	s_wait_loadcnt 0x0
	v_mul_f64_e32 v[38:39], v[32:33], v[38:39]
	global_store_b64 v[34:35], v[38:39], off
	s_wait_xcnt 0x0
	v_add_nc_u64_e32 v[34:35], 0x800, v[34:35]
	s_and_not1_b32 exec_lo, exec_lo, s10
	s_cbranch_execnz .LBB2_112
.LBB2_113:                              ;   in Loop: Header=BB2_75 Depth=3
	s_or_b32 exec_lo, exec_lo, s9
	s_wait_storecnt 0x0
	s_barrier_signal -1
	s_barrier_wait -1
	s_and_saveexec_b32 s69, s2
	s_cbranch_execz .LBB2_141
; %bb.114:                              ;   in Loop: Header=BB2_75 Depth=3
	s_clause 0x1
	global_load_b128 v[32:35], v3, s[54:55]
	global_load_b64 v[36:37], v3, s[56:57] offset:8
	s_and_not1_b32 vcc_lo, exec_lo, s8
	s_mov_b64 s[18:19], s[60:61]
	s_mov_b64 s[30:31], s[74:75]
	s_mov_b32 s9, s83
	s_wait_loadcnt 0x1
	v_max_num_f64_e64 v[34:35], |v[34:35]|, |v[34:35]|
	s_wait_loadcnt 0x0
	v_max_num_f64_e64 v[36:37], |v[36:37]|, |v[36:37]|
	v_max_num_f64_e64 v[32:33], |v[32:33]|, |v[32:33]|
	s_delay_alu instid0(VALU_DEP_2) | instskip(NEXT) | instid1(VALU_DEP_1)
	v_max_num_f64_e32 v[34:35], v[34:35], v[36:37]
	v_max_num_f64_e32 v[32:33], v[32:33], v[34:35]
	s_cbranch_vccnz .LBB2_116
.LBB2_115:                              ;   Parent Loop BB2_17 Depth=1
                                        ;     Parent Loop BB2_27 Depth=2
                                        ;       Parent Loop BB2_75 Depth=3
                                        ; =>      This Inner Loop Header: Depth=4
	s_add_nc_u64 s[26:27], s[30:31], s[50:51]
	s_clause 0x2
	global_load_b64 v[34:35], v3, s[30:31]
	global_load_b64 v[36:37], v3, s[18:19]
	;; [unrolled: 1-line block ×3, first 2 shown]
	v_max_num_f64_e32 v[32:33], v[32:33], v[32:33]
	s_add_co_i32 s9, s9, -1
	s_wait_xcnt 0x2
	s_add_nc_u64 s[30:31], s[30:31], 8
	s_cmp_lg_u32 s9, 0
	s_wait_xcnt 0x1
	s_add_nc_u64 s[18:19], s[18:19], 8
	s_wait_loadcnt 0x2
	v_max_num_f64_e64 v[34:35], |v[34:35]|, |v[34:35]|
	s_wait_loadcnt 0x1
	v_max_num_f64_e64 v[36:37], |v[36:37]|, |v[36:37]|
	;; [unrolled: 2-line block ×3, first 2 shown]
	s_delay_alu instid0(VALU_DEP_3) | instskip(NEXT) | instid1(VALU_DEP_2)
	v_max_num_f64_e32 v[32:33], v[32:33], v[34:35]
	v_max_num_f64_e32 v[34:35], v[38:39], v[36:37]
	s_delay_alu instid0(VALU_DEP_1)
	v_max_num_f64_e32 v[32:33], v[32:33], v[34:35]
	s_cbranch_scc1 .LBB2_115
.LBB2_116:                              ;   in Loop: Header=BB2_75 Depth=3
	s_mov_b32 s9, s88
	s_mov_b64 s[18:19], s[34:35]
	s_mov_b64 s[30:31], s[58:59]
	;; [unrolled: 1-line block ×3, first 2 shown]
	s_branch .LBB2_118
.LBB2_117:                              ;   in Loop: Header=BB2_118 Depth=4
	s_add_co_i32 s9, s9, -1
	s_wait_xcnt 0x0
	s_add_nc_u64 s[42:43], s[42:43], 8
	s_add_nc_u64 s[30:31], s[30:31], 8
	s_cmp_lg_u32 s9, 0
	s_add_nc_u64 s[18:19], s[18:19], 4
	s_cbranch_scc0 .LBB2_122
.LBB2_118:                              ;   Parent Loop BB2_17 Depth=1
                                        ;     Parent Loop BB2_27 Depth=2
                                        ;       Parent Loop BB2_75 Depth=3
                                        ; =>      This Inner Loop Header: Depth=4
	global_load_b32 v34, v3, s[18:19]
	s_wait_loadcnt 0x0
	v_cmp_ne_u32_e32 vcc_lo, 0, v34
	s_cbranch_vccz .LBB2_120
; %bb.119:                              ;   in Loop: Header=BB2_118 Depth=4
	global_load_b128 v[34:37], v3, s[42:43] offset:-8
	s_wait_loadcnt 0x0
	s_clause 0x1
	global_store_b64 v3, v[36:37], s[42:43] offset:-8
	global_load_b64 v[38:39], v3, s[30:31]
	s_wait_loadcnt 0x0
	v_fma_f64 v[34:35], -v[36:37], v[38:39], v[34:35]
	global_store_b64 v3, v[34:35], s[42:43]
	s_cbranch_execnz .LBB2_117
	s_branch .LBB2_121
.LBB2_120:                              ;   in Loop: Header=BB2_118 Depth=4
.LBB2_121:                              ;   in Loop: Header=BB2_118 Depth=4
	s_clause 0x1
	global_load_b128 v[34:37], v3, s[42:43] offset:-8
	global_load_b64 v[38:39], v3, s[30:31]
	s_wait_loadcnt 0x0
	v_fma_f64 v[34:35], -v[38:39], v[34:35], v[36:37]
	global_store_b64 v3, v[34:35], s[42:43]
	s_branch .LBB2_117
.LBB2_122:                              ;   in Loop: Header=BB2_75 Depth=3
	v_mul_f64_e32 v[32:33], s[20:21], v[32:33]
	s_delay_alu instid0(VALU_DEP_1)
	v_cmp_eq_f64_e32 vcc_lo, 0, v[32:33]
	v_readfirstlane_b32 s9, v33
	v_readfirstlane_b32 s10, v32
	s_and_b32 s18, vcc_lo, exec_lo
	s_cselect_b32 s42, s21, s9
	s_cselect_b32 s43, s20, s10
	s_and_b32 s76, s42, 0x7fffffff
	s_mov_b32 s77, s43
	s_mov_b32 s10, s88
	s_branch .LBB2_125
.LBB2_123:                              ;   in Loop: Header=BB2_125 Depth=4
	s_delay_alu instid0(VALU_DEP_1)
	v_mov_b64_e32 v[34:35], v[42:43]
.LBB2_124:                              ;   in Loop: Header=BB2_125 Depth=4
	s_delay_alu instid0(VALU_DEP_1)
	v_div_scale_f64 v[36:37], null, v[34:35], v[34:35], v[32:33]
	s_add_co_i32 s9, s10, -1
	s_cmp_gt_i32 s10, 0
	s_mov_b32 s10, s9
	v_rcp_f64_e32 v[38:39], v[36:37]
	v_nop
	s_delay_alu instid0(TRANS32_DEP_1) | instskip(NEXT) | instid1(VALU_DEP_1)
	v_fma_f64 v[40:41], -v[36:37], v[38:39], 1.0
	v_fmac_f64_e32 v[38:39], v[38:39], v[40:41]
	s_delay_alu instid0(VALU_DEP_1) | instskip(NEXT) | instid1(VALU_DEP_1)
	v_fma_f64 v[40:41], -v[36:37], v[38:39], 1.0
	v_fmac_f64_e32 v[38:39], v[38:39], v[40:41]
	v_div_scale_f64 v[40:41], vcc_lo, v[32:33], v[34:35], v[32:33]
	s_delay_alu instid0(VALU_DEP_1) | instskip(NEXT) | instid1(VALU_DEP_1)
	v_mul_f64_e32 v[42:43], v[40:41], v[38:39]
	v_fma_f64 v[36:37], -v[36:37], v[42:43], v[40:41]
	s_delay_alu instid0(VALU_DEP_1) | instskip(SKIP_1) | instid1(VALU_DEP_1)
	v_div_fmas_f64 v[36:37], v[36:37], v[38:39], v[42:43]
	s_wait_xcnt 0x1
	v_div_fixup_f64 v[32:33], v[36:37], v[34:35], v[32:33]
	global_store_b64 v3, v[32:33], s[18:19]
	s_cbranch_scc0 .LBB2_141
.LBB2_125:                              ;   Parent Loop BB2_17 Depth=1
                                        ;     Parent Loop BB2_27 Depth=2
                                        ;       Parent Loop BB2_75 Depth=3
                                        ; =>      This Loop Header: Depth=4
                                        ;           Child Loop BB2_131 Depth 5
	s_wait_xcnt 0x0
	v_mov_b32_e32 v32, s10
	s_lshl_b64 s[30:31], s[10:11], 3
	s_cmp_ge_i32 s10, s88
	s_add_nc_u64 s[18:19], s[48:49], s[30:31]
	global_load_b64 v[32:33], v32, s[48:49] scale_offset
	s_cbranch_scc1 .LBB2_127
; %bb.126:                              ;   in Loop: Header=BB2_125 Depth=4
	s_add_nc_u64 s[26:27], s[56:57], s[30:31]
	s_clause 0x1
	global_load_b64 v[34:35], v3, s[26:27] offset:8
	global_load_b64 v[36:37], v3, s[18:19] offset:8
	s_wait_loadcnt 0x0
	s_wait_xcnt 0x2
	v_fma_f64 v[32:33], -v[34:35], v[36:37], v[32:33]
.LBB2_127:                              ;   in Loop: Header=BB2_125 Depth=4
	s_cmp_ge_i32 s10, s83
	s_cbranch_scc1 .LBB2_129
; %bb.128:                              ;   in Loop: Header=BB2_125 Depth=4
	s_wait_xcnt 0x1
	s_add_nc_u64 s[26:27], s[60:61], s[30:31]
	s_clause 0x1
	global_load_b64 v[34:35], v3, s[26:27]
	global_load_b64 v[36:37], v3, s[18:19] offset:16
	s_wait_loadcnt 0x0
	s_wait_xcnt 0x2
	v_fma_f64 v[32:33], -v[34:35], v[36:37], v[32:33]
.LBB2_129:                              ;   in Loop: Header=BB2_125 Depth=4
	s_wait_xcnt 0x1
	s_add_nc_u64 s[26:27], s[54:55], s[30:31]
	global_load_b64 v[34:35], v3, s[26:27]
	s_wait_loadcnt 0x0
	v_cmp_nlt_f64_e64 s9, |v[34:35]|, 1.0
	s_and_b32 vcc_lo, exec_lo, s9
	s_cbranch_vccnz .LBB2_124
; %bb.130:                              ;   in Loop: Header=BB2_125 Depth=4
	v_cmp_nle_f64_e32 vcc_lo, 0, v[34:35]
	v_mul_f64_e64 v[36:37], s[22:23], |v[32:33]|
	s_xor_b32 s9, s76, 0x80000000
	s_wait_xcnt 0x0
	s_and_b32 s26, s42, 0x7fffffff
	v_and_b32_e32 v41, 0x7fffffff, v35
	v_mov_b32_e32 v40, v34
	s_and_b32 s27, vcc_lo, exec_lo
	s_cselect_b32 s27, s9, s26
	s_cselect_b32 s26, s77, s43
	s_delay_alu instid0(SALU_CYCLE_1)
	v_mov_b64_e32 v[38:39], s[26:27]
.LBB2_131:                              ;   Parent Loop BB2_17 Depth=1
                                        ;     Parent Loop BB2_27 Depth=2
                                        ;       Parent Loop BB2_75 Depth=3
                                        ;         Parent Loop BB2_125 Depth=4
                                        ; =>        This Inner Loop Header: Depth=5
	v_cmp_ngt_f64_e32 vcc_lo, s[22:23], v[40:41]
	s_mov_b32 s9, -1
	s_mov_b32 s26, 0
	s_mov_b32 s27, -1
	s_cbranch_vccnz .LBB2_135
; %bb.132:                              ;   in Loop: Header=BB2_131 Depth=5
	s_and_not1_b32 vcc_lo, exec_lo, s27
	s_cbranch_vccz .LBB2_136
.LBB2_133:                              ;   in Loop: Header=BB2_131 Depth=5
	s_and_not1_b32 vcc_lo, exec_lo, s26
	s_cbranch_vccnz .LBB2_137
.LBB2_134:                              ;   in Loop: Header=BB2_131 Depth=5
	v_add_f64_e32 v[42:43], v[34:35], v[38:39]
	v_add_f64_e32 v[38:39], v[38:39], v[38:39]
	s_mov_b32 s9, -1
	s_delay_alu instid0(VALU_DEP_2)
	v_cmp_nlt_f64_e64 s26, |v[42:43]|, 1.0
	v_and_b32_e32 v41, 0x7fffffff, v43
	v_mov_b32_e32 v40, v42
	s_and_not1_b32 vcc_lo, exec_lo, s26
	s_cbranch_vccnz .LBB2_138
	s_branch .LBB2_139
.LBB2_135:                              ;   in Loop: Header=BB2_131 Depth=5
	v_mul_f64_e32 v[42:43], v[6:7], v[40:41]
	s_delay_alu instid0(VALU_DEP_1)
	v_cmp_gt_f64_e64 s26, |v[32:33]|, v[42:43]
	s_cbranch_execnz .LBB2_133
.LBB2_136:                              ;   in Loop: Header=BB2_131 Depth=5
	v_cmp_eq_f64_e32 vcc_lo, 0, v[34:35]
	v_cmp_gt_f64_e64 s9, v[36:37], v[40:41]
	s_or_b32 s26, vcc_lo, s9
	s_mov_b32 s9, 0
	s_and_not1_b32 vcc_lo, exec_lo, s26
	s_cbranch_vccz .LBB2_134
.LBB2_137:                              ;   in Loop: Header=BB2_125 Depth=4
	v_mov_b64_e32 v[42:43], v[34:35]
                                        ; implicit-def: $vgpr38_vgpr39
                                        ; implicit-def: $vgpr40_vgpr41
	s_branch .LBB2_139
.LBB2_138:                              ;   in Loop: Header=BB2_131 Depth=5
	v_mov_b64_e32 v[34:35], v[42:43]
	s_branch .LBB2_131
.LBB2_139:                              ;   in Loop: Header=BB2_125 Depth=4
	s_and_not1_b32 vcc_lo, exec_lo, s9
	s_cbranch_vccz .LBB2_123
; %bb.140:                              ;   in Loop: Header=BB2_125 Depth=4
	v_mul_f64_e32 v[32:33], v[6:7], v[32:33]
	v_mul_f64_e32 v[42:43], v[6:7], v[34:35]
	s_branch .LBB2_123
.LBB2_141:                              ;   in Loop: Header=BB2_75 Depth=3
	s_wait_xcnt 0x0
	s_or_b32 exec_lo, exec_lo, s69
	s_delay_alu instid0(SALU_CYCLE_1)
	s_and_not1_b32 vcc_lo, exec_lo, s99
	s_wait_storecnt 0x0
	s_barrier_signal -1
	s_barrier_wait -1
	s_cbranch_vccnz .LBB2_151
; %bb.142:                              ;   in Loop: Header=BB2_75 Depth=3
	s_and_b32 s9, s66, exec_lo
	s_cselect_b32 s9, s98, s85
	s_mov_b32 s85, s98
	s_cmp_eq_u32 s9, s98
	s_cbranch_scc1 .LBB2_151
; %bb.143:                              ;   in Loop: Header=BB2_75 Depth=3
	s_cmp_lt_i32 s9, s98
	s_cselect_b32 s10, -1, 0
	s_delay_alu instid0(SALU_CYCLE_1) | instskip(NEXT) | instid1(SALU_CYCLE_1)
	s_and_b32 s18, s2, s10
	s_and_saveexec_b32 s10, s18
	s_cbranch_execz .LBB2_150
; %bb.144:                              ;   in Loop: Header=BB2_75 Depth=3
	s_mul_i32 s18, s29, s9
	s_mov_b32 s27, s9
	s_add_co_i32 s26, s84, s18
.LBB2_145:                              ;   Parent Loop BB2_17 Depth=1
                                        ;     Parent Loop BB2_27 Depth=2
                                        ;       Parent Loop BB2_75 Depth=3
                                        ; =>      This Loop Header: Depth=4
                                        ;           Child Loop BB2_146 Depth 5
                                        ;           Child Loop BB2_148 Depth 5
	v_mov_b64_e32 v[32:33], 0
	s_mov_b64 s[18:19], s[48:49]
	s_mov_b32 s30, s26
	s_mov_b32 s31, s87
.LBB2_146:                              ;   Parent Loop BB2_17 Depth=1
                                        ;     Parent Loop BB2_27 Depth=2
                                        ;       Parent Loop BB2_75 Depth=3
                                        ;         Parent Loop BB2_145 Depth=4
                                        ; =>        This Inner Loop Header: Depth=5
	s_wait_xcnt 0x0
	v_mov_b32_e32 v36, s30
	s_add_co_i32 s31, s31, -1
	s_add_co_i32 s30, s30, 1
	s_cmp_lg_u32 s31, 0
	global_load_b64 v[34:35], v3, s[18:19]
	global_load_b64 v[36:37], v36, s[46:47] scale_offset
	s_wait_xcnt 0x1
	s_add_nc_u64 s[18:19], s[18:19], 8
	s_wait_loadcnt 0x0
	v_fmac_f64_e32 v[32:33], v[34:35], v[36:37]
	s_cbranch_scc1 .LBB2_146
; %bb.147:                              ;   in Loop: Header=BB2_145 Depth=4
	s_mov_b32 s30, 0
	s_mov_b64 s[18:19], s[48:49]
.LBB2_148:                              ;   Parent Loop BB2_17 Depth=1
                                        ;     Parent Loop BB2_27 Depth=2
                                        ;       Parent Loop BB2_75 Depth=3
                                        ;         Parent Loop BB2_145 Depth=4
                                        ; =>        This Inner Loop Header: Depth=5
	s_add_co_i32 s31, s26, s30
	s_add_co_i32 s30, s30, 1
	s_wait_xcnt 0x0
	v_mov_b32_e32 v36, s31
	s_cmp_lg_u32 s87, s30
	global_load_b64 v[34:35], v3, s[18:19]
	global_load_b64 v[36:37], v36, s[46:47] scale_offset
	s_wait_loadcnt 0x0
	v_fma_f64 v[34:35], -v[32:33], v[36:37], v[34:35]
	global_store_b64 v3, v[34:35], s[18:19]
	s_wait_xcnt 0x0
	s_add_nc_u64 s[18:19], s[18:19], 8
	s_cbranch_scc1 .LBB2_148
; %bb.149:                              ;   in Loop: Header=BB2_145 Depth=4
	s_add_co_i32 s27, s27, 1
	s_add_co_i32 s26, s26, s29
	s_cmp_lt_i32 s27, s98
	s_cbranch_scc1 .LBB2_145
.LBB2_150:                              ;   in Loop: Header=BB2_75 Depth=3
	s_or_b32 exec_lo, exec_lo, s10
	s_mov_b32 s85, s9
	s_wait_storecnt 0x0
	s_barrier_signal -1
	s_barrier_wait -1
.LBB2_151:                              ;   in Loop: Header=BB2_75 Depth=3
	v_mov_b64_e32 v[32:33], 0
	v_bfrev_b32_e32 v36, -2
	s_and_saveexec_b32 s10, s7
	s_cbranch_execz .LBB2_155
; %bb.152:                              ;   in Loop: Header=BB2_75 Depth=3
	v_mov_b64_e32 v[32:33], 0
	v_mov_b64_e32 v[34:35], v[8:9]
	v_bfrev_b32_e32 v36, -2
	v_mov_b32_e32 v37, v0
	s_mov_b32 s18, 0
.LBB2_153:                              ;   Parent Loop BB2_17 Depth=1
                                        ;     Parent Loop BB2_27 Depth=2
                                        ;       Parent Loop BB2_75 Depth=3
                                        ; =>      This Inner Loop Header: Depth=4
	global_load_b64 v[38:39], v[34:35], off
	v_cmp_eq_u32_e32 vcc_lo, 0x7fffffff, v36
	s_wait_xcnt 0x0
	v_add_nc_u64_e32 v[34:35], 0x800, v[34:35]
	s_wait_loadcnt 0x0
	v_cmp_lt_f64_e64 s19, v[32:33], |v[38:39]|
	v_and_b32_e32 v39, 0x7fffffff, v39
	s_or_b32 vcc_lo, s19, vcc_lo
	s_delay_alu instid0(VALU_DEP_1) | instskip(SKIP_1) | instid1(VALU_DEP_2)
	v_dual_cndmask_b32 v33, v33, v39 :: v_dual_add_nc_u32 v40, 1, v37
	v_dual_cndmask_b32 v32, v32, v38 :: v_dual_add_nc_u32 v37, 0x100, v37
	v_cndmask_b32_e32 v36, v36, v40, vcc_lo
	s_delay_alu instid0(VALU_DEP_2) | instskip(SKIP_1) | instid1(SALU_CYCLE_1)
	v_cmp_ge_u32_e64 s9, v37, v53
	s_or_b32 s18, s9, s18
	s_and_not1_b32 exec_lo, exec_lo, s18
	s_cbranch_execnz .LBB2_153
; %bb.154:                              ;   in Loop: Header=BB2_75 Depth=3
	s_or_b32 exec_lo, exec_lo, s18
.LBB2_155:                              ;   in Loop: Header=BB2_75 Depth=3
	s_delay_alu instid0(SALU_CYCLE_1)
	s_or_b32 exec_lo, exec_lo, s10
	ds_store_b64 v50, v[32:33]
	ds_store_b32 v51, v36 offset:4096
	s_wait_dscnt 0x0
	s_barrier_signal -1
	s_barrier_wait -1
	s_and_saveexec_b32 s10, s0
	s_cbranch_execz .LBB2_161
; %bb.156:                              ;   in Loop: Header=BB2_75 Depth=3
	ds_load_b64 v[34:35], v50 offset:1024
	ds_load_b32 v37, v51 offset:4608
	s_mov_b32 s19, exec_lo
	s_wait_dscnt 0x1
	v_cmp_lt_f64_e64 s18, v[32:33], v[34:35]
	v_cmpx_nlt_f64_e32 v[32:33], v[34:35]
	s_cbranch_execz .LBB2_158
; %bb.157:                              ;   in Loop: Header=BB2_75 Depth=3
	v_cmp_eq_f64_e32 vcc_lo, v[32:33], v[34:35]
	s_wait_dscnt 0x0
	v_cmp_gt_i32_e64 s9, v36, v37
	s_and_not1_b32 s18, s18, exec_lo
	s_and_b32 s9, vcc_lo, s9
	s_delay_alu instid0(SALU_CYCLE_1) | instskip(NEXT) | instid1(SALU_CYCLE_1)
	s_and_b32 s9, s9, exec_lo
	s_or_b32 s18, s18, s9
.LBB2_158:                              ;   in Loop: Header=BB2_75 Depth=3
	s_or_b32 exec_lo, exec_lo, s19
	s_and_saveexec_b32 s9, s18
	s_cbranch_execz .LBB2_160
; %bb.159:                              ;   in Loop: Header=BB2_75 Depth=3
	v_mov_b64_e32 v[32:33], v[34:35]
	s_wait_dscnt 0x0
	v_mov_b32_e32 v36, v37
	ds_store_b64 v50, v[34:35]
	ds_store_b32 v51, v37 offset:4096
.LBB2_160:                              ;   in Loop: Header=BB2_75 Depth=3
	s_or_b32 exec_lo, exec_lo, s9
.LBB2_161:                              ;   in Loop: Header=BB2_75 Depth=3
	s_delay_alu instid0(SALU_CYCLE_1)
	s_or_b32 exec_lo, exec_lo, s10
	s_wait_dscnt 0x0
	s_barrier_signal -1
	s_barrier_wait -1
	s_and_saveexec_b32 s10, s1
	s_cbranch_execz .LBB2_167
; %bb.162:                              ;   in Loop: Header=BB2_75 Depth=3
	ds_load_b64 v[34:35], v50 offset:512
	ds_load_b32 v37, v51 offset:4352
	s_mov_b32 s19, exec_lo
	s_wait_dscnt 0x1
	v_cmp_lt_f64_e64 s18, v[32:33], v[34:35]
	v_cmpx_nlt_f64_e32 v[32:33], v[34:35]
	s_cbranch_execz .LBB2_164
; %bb.163:                              ;   in Loop: Header=BB2_75 Depth=3
	v_cmp_eq_f64_e32 vcc_lo, v[32:33], v[34:35]
	s_wait_dscnt 0x0
	v_cmp_gt_i32_e64 s9, v36, v37
	s_and_not1_b32 s18, s18, exec_lo
	s_and_b32 s9, vcc_lo, s9
	s_delay_alu instid0(SALU_CYCLE_1) | instskip(NEXT) | instid1(SALU_CYCLE_1)
	s_and_b32 s9, s9, exec_lo
	s_or_b32 s18, s18, s9
.LBB2_164:                              ;   in Loop: Header=BB2_75 Depth=3
	s_or_b32 exec_lo, exec_lo, s19
	s_and_saveexec_b32 s9, s18
	s_cbranch_execz .LBB2_166
; %bb.165:                              ;   in Loop: Header=BB2_75 Depth=3
	v_mov_b64_e32 v[32:33], v[34:35]
	s_wait_dscnt 0x0
	v_mov_b32_e32 v36, v37
	ds_store_b64 v50, v[34:35]
	ds_store_b32 v51, v37 offset:4096
.LBB2_166:                              ;   in Loop: Header=BB2_75 Depth=3
	s_or_b32 exec_lo, exec_lo, s9
.LBB2_167:                              ;   in Loop: Header=BB2_75 Depth=3
	s_delay_alu instid0(SALU_CYCLE_1)
	s_or_b32 exec_lo, exec_lo, s10
	s_wait_dscnt 0x0
	s_barrier_signal -1
	s_barrier_wait -1
	s_and_saveexec_b32 s18, s3
	s_cbranch_execz .LBB2_190
; %bb.168:                              ;   in Loop: Header=BB2_75 Depth=3
	ds_load_b64 v[34:35], v50 offset:256
	ds_load_b32 v37, v51 offset:4224
	s_mov_b32 s19, exec_lo
	s_wait_dscnt 0x1
	v_cmp_lt_f64_e64 s10, v[32:33], v[34:35]
	v_cmpx_nlt_f64_e32 v[32:33], v[34:35]
	s_cbranch_execz .LBB2_170
; %bb.169:                              ;   in Loop: Header=BB2_75 Depth=3
	v_cmp_eq_f64_e32 vcc_lo, v[32:33], v[34:35]
	s_wait_dscnt 0x0
	v_cmp_gt_i32_e64 s9, v36, v37
	s_and_not1_b32 s10, s10, exec_lo
	s_and_b32 s9, vcc_lo, s9
	s_delay_alu instid0(SALU_CYCLE_1) | instskip(NEXT) | instid1(SALU_CYCLE_1)
	s_and_b32 s9, s9, exec_lo
	s_or_b32 s10, s10, s9
.LBB2_170:                              ;   in Loop: Header=BB2_75 Depth=3
	s_or_b32 exec_lo, exec_lo, s19
	s_and_saveexec_b32 s9, s10
	s_cbranch_execz .LBB2_172
; %bb.171:                              ;   in Loop: Header=BB2_75 Depth=3
	v_mov_b64_e32 v[32:33], v[34:35]
	s_wait_dscnt 0x0
	v_mov_b32_e32 v36, v37
	ds_store_b64 v50, v[34:35]
	ds_store_b32 v51, v37 offset:4096
.LBB2_172:                              ;   in Loop: Header=BB2_75 Depth=3
	s_or_b32 exec_lo, exec_lo, s9
	ds_load_b64 v[34:35], v50 offset:128
	s_wait_dscnt 0x1
	ds_load_b32 v37, v51 offset:4160
	s_mov_b32 s19, exec_lo
	s_wait_dscnt 0x1
	v_cmp_lt_f64_e64 s10, v[32:33], v[34:35]
	v_cmpx_nlt_f64_e32 v[32:33], v[34:35]
	s_cbranch_execz .LBB2_174
; %bb.173:                              ;   in Loop: Header=BB2_75 Depth=3
	v_cmp_eq_f64_e32 vcc_lo, v[32:33], v[34:35]
	s_wait_dscnt 0x0
	v_cmp_gt_i32_e64 s9, v36, v37
	s_and_not1_b32 s10, s10, exec_lo
	s_and_b32 s9, vcc_lo, s9
	s_delay_alu instid0(SALU_CYCLE_1) | instskip(NEXT) | instid1(SALU_CYCLE_1)
	s_and_b32 s9, s9, exec_lo
	s_or_b32 s10, s10, s9
.LBB2_174:                              ;   in Loop: Header=BB2_75 Depth=3
	s_or_b32 exec_lo, exec_lo, s19
	s_and_saveexec_b32 s9, s10
	s_cbranch_execz .LBB2_176
; %bb.175:                              ;   in Loop: Header=BB2_75 Depth=3
	v_mov_b64_e32 v[32:33], v[34:35]
	s_wait_dscnt 0x0
	v_mov_b32_e32 v36, v37
	ds_store_b64 v50, v[34:35]
	ds_store_b32 v51, v37 offset:4096
.LBB2_176:                              ;   in Loop: Header=BB2_75 Depth=3
	s_or_b32 exec_lo, exec_lo, s9
	ds_load_b64 v[34:35], v50 offset:64
	s_wait_dscnt 0x1
	ds_load_b32 v37, v51 offset:4128
	s_mov_b32 s19, exec_lo
	s_wait_dscnt 0x1
	v_cmp_lt_f64_e64 s10, v[32:33], v[34:35]
	v_cmpx_nlt_f64_e32 v[32:33], v[34:35]
	s_cbranch_execz .LBB2_178
; %bb.177:                              ;   in Loop: Header=BB2_75 Depth=3
	v_cmp_eq_f64_e32 vcc_lo, v[32:33], v[34:35]
	s_wait_dscnt 0x0
	v_cmp_gt_i32_e64 s9, v36, v37
	s_and_not1_b32 s10, s10, exec_lo
	s_and_b32 s9, vcc_lo, s9
	s_delay_alu instid0(SALU_CYCLE_1) | instskip(NEXT) | instid1(SALU_CYCLE_1)
	s_and_b32 s9, s9, exec_lo
	s_or_b32 s10, s10, s9
.LBB2_178:                              ;   in Loop: Header=BB2_75 Depth=3
	s_or_b32 exec_lo, exec_lo, s19
	s_and_saveexec_b32 s9, s10
	s_cbranch_execz .LBB2_180
; %bb.179:                              ;   in Loop: Header=BB2_75 Depth=3
	v_mov_b64_e32 v[32:33], v[34:35]
	s_wait_dscnt 0x0
	v_mov_b32_e32 v36, v37
	ds_store_b64 v50, v[34:35]
	ds_store_b32 v51, v37 offset:4096
.LBB2_180:                              ;   in Loop: Header=BB2_75 Depth=3
	s_or_b32 exec_lo, exec_lo, s9
	ds_load_b64 v[34:35], v50 offset:32
	s_wait_dscnt 0x1
	ds_load_b32 v37, v51 offset:4112
	s_mov_b32 s19, exec_lo
	s_wait_dscnt 0x1
	v_cmp_lt_f64_e64 s10, v[32:33], v[34:35]
	v_cmpx_nlt_f64_e32 v[32:33], v[34:35]
	s_cbranch_execz .LBB2_182
; %bb.181:                              ;   in Loop: Header=BB2_75 Depth=3
	v_cmp_eq_f64_e32 vcc_lo, v[32:33], v[34:35]
	s_wait_dscnt 0x0
	v_cmp_gt_i32_e64 s9, v36, v37
	s_and_not1_b32 s10, s10, exec_lo
	s_and_b32 s9, vcc_lo, s9
	s_delay_alu instid0(SALU_CYCLE_1) | instskip(NEXT) | instid1(SALU_CYCLE_1)
	s_and_b32 s9, s9, exec_lo
	s_or_b32 s10, s10, s9
.LBB2_182:                              ;   in Loop: Header=BB2_75 Depth=3
	s_or_b32 exec_lo, exec_lo, s19
	s_and_saveexec_b32 s9, s10
	s_cbranch_execz .LBB2_184
; %bb.183:                              ;   in Loop: Header=BB2_75 Depth=3
	v_mov_b64_e32 v[32:33], v[34:35]
	s_wait_dscnt 0x0
	v_mov_b32_e32 v36, v37
	ds_store_b64 v50, v[34:35]
	ds_store_b32 v51, v37 offset:4096
.LBB2_184:                              ;   in Loop: Header=BB2_75 Depth=3
	s_or_b32 exec_lo, exec_lo, s9
	ds_load_b64 v[34:35], v50 offset:16
	s_wait_dscnt 0x1
	ds_load_b32 v37, v51 offset:4104
	s_mov_b32 s19, exec_lo
	s_wait_dscnt 0x1
	v_cmp_lt_f64_e64 s10, v[32:33], v[34:35]
	v_cmpx_nlt_f64_e32 v[32:33], v[34:35]
	s_cbranch_execz .LBB2_186
; %bb.185:                              ;   in Loop: Header=BB2_75 Depth=3
	v_cmp_eq_f64_e32 vcc_lo, v[32:33], v[34:35]
	s_wait_dscnt 0x0
	v_cmp_gt_i32_e64 s9, v36, v37
	s_and_not1_b32 s10, s10, exec_lo
	s_and_b32 s9, vcc_lo, s9
	s_delay_alu instid0(SALU_CYCLE_1) | instskip(NEXT) | instid1(SALU_CYCLE_1)
	s_and_b32 s9, s9, exec_lo
	s_or_b32 s10, s10, s9
.LBB2_186:                              ;   in Loop: Header=BB2_75 Depth=3
	s_or_b32 exec_lo, exec_lo, s19
	s_and_saveexec_b32 s9, s10
	s_cbranch_execz .LBB2_188
; %bb.187:                              ;   in Loop: Header=BB2_75 Depth=3
	v_mov_b64_e32 v[32:33], v[34:35]
	s_wait_dscnt 0x0
	v_mov_b32_e32 v36, v37
	ds_store_b64 v50, v[34:35]
	ds_store_b32 v51, v37 offset:4096
.LBB2_188:                              ;   in Loop: Header=BB2_75 Depth=3
	s_or_b32 exec_lo, exec_lo, s9
	ds_load_b64 v[34:35], v50 offset:8
	s_wait_dscnt 0x0
	v_cmp_eq_f64_e32 vcc_lo, v[32:33], v[34:35]
	v_cmp_lt_f64_e64 s9, v[32:33], v[34:35]
	ds_load_b32 v32, v51 offset:4100
	s_wait_dscnt 0x0
	v_cmp_gt_i32_e64 s10, v36, v32
	s_and_b32 s10, vcc_lo, s10
	s_delay_alu instid0(SALU_CYCLE_1) | instskip(NEXT) | instid1(SALU_CYCLE_1)
	s_or_b32 s9, s9, s10
	s_and_b32 exec_lo, exec_lo, s9
	s_cbranch_execz .LBB2_190
; %bb.189:                              ;   in Loop: Header=BB2_75 Depth=3
	ds_store_b64 v50, v[34:35]
	ds_store_b32 v51, v32 offset:4096
.LBB2_190:                              ;   in Loop: Header=BB2_75 Depth=3
	s_or_b32 exec_lo, exec_lo, s18
	s_wait_dscnt 0x0
	s_barrier_signal -1
	s_barrier_wait -1
	ds_load_b64 v[32:33], v52
	s_add_co_i32 s9, s68, 1
	s_wait_dscnt 0x0
	v_cmp_ge_f64_e32 vcc_lo, v[32:33], v[20:21]
	v_cndmask_b32_e64 v32, 0, 1, vcc_lo
	s_delay_alu instid0(VALU_DEP_1)
	v_readfirstlane_b32 s10, v32
	s_add_co_i32 s67, s67, s10
	s_cmp_lt_u32 s68, 4
	s_cselect_b32 s18, -1, 0
	s_cmp_lt_u32 s67, 2
	s_cselect_b32 s10, -1, 0
	s_delay_alu instid0(SALU_CYCLE_1) | instskip(NEXT) | instid1(SALU_CYCLE_1)
	s_and_b32 s18, s18, s10
	s_and_b32 vcc_lo, exec_lo, s18
	s_cbranch_vccz .LBB2_192
; %bb.191:                              ;   in Loop: Header=BB2_75 Depth=3
	s_mov_b32 s68, s9
	v_mov_b64_e32 v[32:33], 0
	v_bfrev_b32_e32 v36, -2
	s_and_saveexec_b32 s10, s7
	s_cbranch_execnz .LBB2_72
	s_branch .LBB2_75
.LBB2_192:                              ;   in Loop: Header=BB2_27 Depth=2
	s_and_b32 s10, s33, s10
	s_delay_alu instid0(SALU_CYCLE_1)
	s_and_saveexec_b32 s9, s10
	s_cbranch_execz .LBB2_194
; %bb.193:                              ;   in Loop: Header=BB2_27 Depth=2
	ds_load_b32 v32, v3
	s_add_co_i32 s10, s98, 1
	s_wait_dscnt 0x0
	v_dual_mov_b32 v33, s10 :: v_dual_add_nc_u32 v34, 1, v32
	global_store_b32 v32, v33, s[52:53] scale_offset
	ds_store_b32 v3, v34
.LBB2_194:                              ;   in Loop: Header=BB2_27 Depth=2
	s_wait_xcnt 0x0
	s_or_b32 exec_lo, exec_lo, s9
	v_mov_b64_e32 v[32:33], 0
	v_bfrev_b32_e32 v36, -2
	s_and_saveexec_b32 s10, s7
	s_cbranch_execz .LBB2_198
; %bb.195:                              ;   in Loop: Header=BB2_27 Depth=2
	v_mov_b64_e32 v[32:33], 0
	v_mov_b64_e32 v[34:35], v[8:9]
	v_bfrev_b32_e32 v36, -2
	v_mov_b32_e32 v37, v0
	s_mov_b32 s18, 0
.LBB2_196:                              ;   Parent Loop BB2_17 Depth=1
                                        ;     Parent Loop BB2_27 Depth=2
                                        ; =>    This Inner Loop Header: Depth=3
	global_load_b64 v[38:39], v[34:35], off
	v_cmp_eq_u32_e32 vcc_lo, 0x7fffffff, v36
	s_wait_xcnt 0x0
	v_add_nc_u64_e32 v[34:35], 0x800, v[34:35]
	s_wait_loadcnt 0x0
	v_cmp_lt_f64_e64 s19, v[32:33], |v[38:39]|
	v_and_b32_e32 v39, 0x7fffffff, v39
	s_or_b32 vcc_lo, s19, vcc_lo
	s_delay_alu instid0(VALU_DEP_1) | instskip(SKIP_1) | instid1(VALU_DEP_2)
	v_dual_cndmask_b32 v33, v33, v39 :: v_dual_add_nc_u32 v40, 1, v37
	v_dual_cndmask_b32 v32, v32, v38 :: v_dual_add_nc_u32 v37, 0x100, v37
	v_cndmask_b32_e32 v36, v36, v40, vcc_lo
	s_delay_alu instid0(VALU_DEP_2) | instskip(SKIP_1) | instid1(SALU_CYCLE_1)
	v_cmp_ge_u32_e64 s9, v37, v53
	s_or_b32 s18, s9, s18
	s_and_not1_b32 exec_lo, exec_lo, s18
	s_cbranch_execnz .LBB2_196
; %bb.197:                              ;   in Loop: Header=BB2_27 Depth=2
	s_or_b32 exec_lo, exec_lo, s18
.LBB2_198:                              ;   in Loop: Header=BB2_27 Depth=2
	s_delay_alu instid0(SALU_CYCLE_1)
	s_or_b32 exec_lo, exec_lo, s10
	ds_store_b64 v50, v[32:33]
	ds_store_b32 v51, v36 offset:4096
	s_wait_storecnt_dscnt 0x0
	s_barrier_signal -1
	s_barrier_wait -1
	s_and_saveexec_b32 s10, s0
	s_cbranch_execz .LBB2_204
; %bb.199:                              ;   in Loop: Header=BB2_27 Depth=2
	ds_load_b64 v[34:35], v50 offset:1024
	ds_load_b32 v37, v51 offset:4608
	s_mov_b32 s19, exec_lo
	s_wait_dscnt 0x1
	v_cmp_lt_f64_e64 s18, v[32:33], v[34:35]
	v_cmpx_nlt_f64_e32 v[32:33], v[34:35]
	s_cbranch_execz .LBB2_201
; %bb.200:                              ;   in Loop: Header=BB2_27 Depth=2
	v_cmp_eq_f64_e32 vcc_lo, v[32:33], v[34:35]
	s_wait_dscnt 0x0
	v_cmp_gt_i32_e64 s9, v36, v37
	s_and_not1_b32 s18, s18, exec_lo
	s_and_b32 s9, vcc_lo, s9
	s_delay_alu instid0(SALU_CYCLE_1) | instskip(NEXT) | instid1(SALU_CYCLE_1)
	s_and_b32 s9, s9, exec_lo
	s_or_b32 s18, s18, s9
.LBB2_201:                              ;   in Loop: Header=BB2_27 Depth=2
	s_or_b32 exec_lo, exec_lo, s19
	s_and_saveexec_b32 s9, s18
	s_cbranch_execz .LBB2_203
; %bb.202:                              ;   in Loop: Header=BB2_27 Depth=2
	v_mov_b64_e32 v[32:33], v[34:35]
	s_wait_dscnt 0x0
	v_mov_b32_e32 v36, v37
	ds_store_b64 v50, v[34:35]
	ds_store_b32 v51, v37 offset:4096
.LBB2_203:                              ;   in Loop: Header=BB2_27 Depth=2
	s_or_b32 exec_lo, exec_lo, s9
.LBB2_204:                              ;   in Loop: Header=BB2_27 Depth=2
	s_delay_alu instid0(SALU_CYCLE_1)
	s_or_b32 exec_lo, exec_lo, s10
	s_wait_dscnt 0x0
	s_barrier_signal -1
	s_barrier_wait -1
	s_and_saveexec_b32 s10, s1
	s_cbranch_execz .LBB2_210
; %bb.205:                              ;   in Loop: Header=BB2_27 Depth=2
	ds_load_b64 v[34:35], v50 offset:512
	ds_load_b32 v37, v51 offset:4352
	s_mov_b32 s19, exec_lo
	s_wait_dscnt 0x1
	v_cmp_lt_f64_e64 s18, v[32:33], v[34:35]
	v_cmpx_nlt_f64_e32 v[32:33], v[34:35]
	s_cbranch_execz .LBB2_207
; %bb.206:                              ;   in Loop: Header=BB2_27 Depth=2
	v_cmp_eq_f64_e32 vcc_lo, v[32:33], v[34:35]
	s_wait_dscnt 0x0
	v_cmp_gt_i32_e64 s9, v36, v37
	s_and_not1_b32 s18, s18, exec_lo
	s_and_b32 s9, vcc_lo, s9
	s_delay_alu instid0(SALU_CYCLE_1) | instskip(NEXT) | instid1(SALU_CYCLE_1)
	s_and_b32 s9, s9, exec_lo
	s_or_b32 s18, s18, s9
.LBB2_207:                              ;   in Loop: Header=BB2_27 Depth=2
	s_or_b32 exec_lo, exec_lo, s19
	s_and_saveexec_b32 s9, s18
	s_cbranch_execz .LBB2_209
; %bb.208:                              ;   in Loop: Header=BB2_27 Depth=2
	v_mov_b64_e32 v[32:33], v[34:35]
	s_wait_dscnt 0x0
	v_mov_b32_e32 v36, v37
	ds_store_b64 v50, v[34:35]
	ds_store_b32 v51, v37 offset:4096
.LBB2_209:                              ;   in Loop: Header=BB2_27 Depth=2
	s_or_b32 exec_lo, exec_lo, s9
.LBB2_210:                              ;   in Loop: Header=BB2_27 Depth=2
	s_delay_alu instid0(SALU_CYCLE_1)
	s_or_b32 exec_lo, exec_lo, s10
	s_wait_dscnt 0x0
	s_barrier_signal -1
	s_barrier_wait -1
	s_and_saveexec_b32 s18, s3
	s_cbranch_execz .LBB2_233
; %bb.211:                              ;   in Loop: Header=BB2_27 Depth=2
	ds_load_b64 v[34:35], v50 offset:256
	ds_load_b32 v37, v51 offset:4224
	s_mov_b32 s19, exec_lo
	s_wait_dscnt 0x1
	v_cmp_lt_f64_e64 s10, v[32:33], v[34:35]
	v_cmpx_nlt_f64_e32 v[32:33], v[34:35]
	s_cbranch_execz .LBB2_213
; %bb.212:                              ;   in Loop: Header=BB2_27 Depth=2
	v_cmp_eq_f64_e32 vcc_lo, v[32:33], v[34:35]
	s_wait_dscnt 0x0
	v_cmp_gt_i32_e64 s9, v36, v37
	s_and_not1_b32 s10, s10, exec_lo
	s_and_b32 s9, vcc_lo, s9
	s_delay_alu instid0(SALU_CYCLE_1) | instskip(NEXT) | instid1(SALU_CYCLE_1)
	s_and_b32 s9, s9, exec_lo
	s_or_b32 s10, s10, s9
.LBB2_213:                              ;   in Loop: Header=BB2_27 Depth=2
	s_or_b32 exec_lo, exec_lo, s19
	s_and_saveexec_b32 s9, s10
	s_cbranch_execz .LBB2_215
; %bb.214:                              ;   in Loop: Header=BB2_27 Depth=2
	v_mov_b64_e32 v[32:33], v[34:35]
	s_wait_dscnt 0x0
	v_mov_b32_e32 v36, v37
	ds_store_b64 v50, v[34:35]
	ds_store_b32 v51, v37 offset:4096
.LBB2_215:                              ;   in Loop: Header=BB2_27 Depth=2
	s_or_b32 exec_lo, exec_lo, s9
	ds_load_b64 v[34:35], v50 offset:128
	s_wait_dscnt 0x1
	ds_load_b32 v37, v51 offset:4160
	s_mov_b32 s19, exec_lo
	s_wait_dscnt 0x1
	v_cmp_lt_f64_e64 s10, v[32:33], v[34:35]
	v_cmpx_nlt_f64_e32 v[32:33], v[34:35]
	s_cbranch_execz .LBB2_217
; %bb.216:                              ;   in Loop: Header=BB2_27 Depth=2
	v_cmp_eq_f64_e32 vcc_lo, v[32:33], v[34:35]
	s_wait_dscnt 0x0
	v_cmp_gt_i32_e64 s9, v36, v37
	s_and_not1_b32 s10, s10, exec_lo
	s_and_b32 s9, vcc_lo, s9
	s_delay_alu instid0(SALU_CYCLE_1) | instskip(NEXT) | instid1(SALU_CYCLE_1)
	s_and_b32 s9, s9, exec_lo
	s_or_b32 s10, s10, s9
.LBB2_217:                              ;   in Loop: Header=BB2_27 Depth=2
	s_or_b32 exec_lo, exec_lo, s19
	s_and_saveexec_b32 s9, s10
	s_cbranch_execz .LBB2_219
; %bb.218:                              ;   in Loop: Header=BB2_27 Depth=2
	v_mov_b64_e32 v[32:33], v[34:35]
	s_wait_dscnt 0x0
	v_mov_b32_e32 v36, v37
	ds_store_b64 v50, v[34:35]
	ds_store_b32 v51, v37 offset:4096
.LBB2_219:                              ;   in Loop: Header=BB2_27 Depth=2
	s_or_b32 exec_lo, exec_lo, s9
	ds_load_b64 v[34:35], v50 offset:64
	s_wait_dscnt 0x1
	;; [unrolled: 29-line block ×5, first 2 shown]
	v_cmp_eq_f64_e32 vcc_lo, v[32:33], v[34:35]
	v_cmp_lt_f64_e64 s9, v[32:33], v[34:35]
	ds_load_b32 v32, v51 offset:4100
	s_wait_dscnt 0x0
	v_cmp_gt_i32_e64 s10, v36, v32
	s_and_b32 s10, vcc_lo, s10
	s_delay_alu instid0(SALU_CYCLE_1) | instskip(NEXT) | instid1(SALU_CYCLE_1)
	s_or_b32 s9, s9, s10
	s_and_b32 exec_lo, exec_lo, s9
	s_cbranch_execz .LBB2_233
; %bb.232:                              ;   in Loop: Header=BB2_27 Depth=2
	ds_store_b64 v50, v[34:35]
	ds_store_b32 v51, v32 offset:4096
.LBB2_233:                              ;   in Loop: Header=BB2_27 Depth=2
	s_or_b32 exec_lo, exec_lo, s18
	v_mov_b64_e32 v[32:33], 0
	s_and_saveexec_b32 s9, s7
	s_cbranch_execz .LBB2_237
; %bb.234:                              ;   in Loop: Header=BB2_27 Depth=2
	v_mov_b64_e32 v[32:33], 0
	v_mov_b64_e32 v[34:35], v[8:9]
	v_mov_b32_e32 v36, v0
	s_mov_b32 s10, 0
.LBB2_235:                              ;   Parent Loop BB2_17 Depth=1
                                        ;     Parent Loop BB2_27 Depth=2
                                        ; =>    This Inner Loop Header: Depth=3
	global_load_b64 v[38:39], v[34:35], off
	v_add_nc_u32_e32 v36, 0x100, v36
	s_wait_xcnt 0x0
	v_add_nc_u64_e32 v[34:35], 0x800, v[34:35]
	s_delay_alu instid0(VALU_DEP_2)
	v_cmp_ge_u32_e32 vcc_lo, v36, v53
	s_or_b32 s10, vcc_lo, s10
	s_wait_loadcnt 0x0
	v_fmac_f64_e32 v[32:33], v[38:39], v[38:39]
	s_and_not1_b32 exec_lo, exec_lo, s10
	s_cbranch_execnz .LBB2_235
; %bb.236:                              ;   in Loop: Header=BB2_27 Depth=2
	s_or_b32 exec_lo, exec_lo, s10
.LBB2_237:                              ;   in Loop: Header=BB2_27 Depth=2
	s_delay_alu instid0(SALU_CYCLE_1)
	s_or_b32 exec_lo, exec_lo, s9
	v_add_nc_u32_e32 v34, v51, v1
	ds_store_b64 v34, v[32:33] offset:2048
	s_wait_dscnt 0x0
	s_barrier_signal -1
	s_barrier_wait -1
	s_and_saveexec_b32 s9, s0
	s_cbranch_execz .LBB2_239
; %bb.238:                              ;   in Loop: Header=BB2_27 Depth=2
	ds_load_b64 v[36:37], v34 offset:3072
	s_wait_dscnt 0x0
	v_add_f64_e32 v[32:33], v[32:33], v[36:37]
.LBB2_239:                              ;   in Loop: Header=BB2_27 Depth=2
	s_or_b32 exec_lo, exec_lo, s9
	s_barrier_signal -1
	s_barrier_wait -1
	s_and_saveexec_b32 s9, s0
; %bb.240:                              ;   in Loop: Header=BB2_27 Depth=2
	ds_store_b64 v34, v[32:33] offset:2048
; %bb.241:                              ;   in Loop: Header=BB2_27 Depth=2
	s_or_b32 exec_lo, exec_lo, s9
	s_wait_dscnt 0x0
	s_barrier_signal -1
	s_barrier_wait -1
	s_and_saveexec_b32 s9, s1
	s_cbranch_execz .LBB2_243
; %bb.242:                              ;   in Loop: Header=BB2_27 Depth=2
	ds_load_b64 v[36:37], v34 offset:2560
	s_wait_dscnt 0x0
	v_add_f64_e32 v[32:33], v[32:33], v[36:37]
.LBB2_243:                              ;   in Loop: Header=BB2_27 Depth=2
	s_or_b32 exec_lo, exec_lo, s9
	s_barrier_signal -1
	s_barrier_wait -1
	s_and_saveexec_b32 s9, s1
; %bb.244:                              ;   in Loop: Header=BB2_27 Depth=2
	ds_store_b64 v34, v[32:33] offset:2048
; %bb.245:                              ;   in Loop: Header=BB2_27 Depth=2
	s_or_b32 exec_lo, exec_lo, s9
	s_wait_dscnt 0x0
	s_barrier_signal -1
	s_barrier_wait -1
	s_and_saveexec_b32 s9, s3
	s_cbranch_execz .LBB2_247
; %bb.246:                              ;   in Loop: Header=BB2_27 Depth=2
	v_add_nc_u32_e32 v35, 0x800, v34
	ds_load_2addr_b64 v[36:39], v35 offset1:32
	s_wait_dscnt 0x0
	v_add_f64_e32 v[32:33], v[36:37], v[38:39]
	ds_store_b64 v34, v[32:33] offset:2048
	global_wb scope:SCOPE_DEV
	s_wait_storecnt_dscnt 0x0
	global_inv scope:SCOPE_DEV
	ds_load_2addr_b64 v[36:39], v35 offset1:16
	s_wait_dscnt 0x0
	v_add_f64_e32 v[32:33], v[36:37], v[38:39]
	ds_store_b64 v34, v[32:33] offset:2048
	global_wb scope:SCOPE_DEV
	s_wait_storecnt 0x0
	s_wait_loadcnt_dscnt 0x0
	global_inv scope:SCOPE_DEV
	ds_load_2addr_b64 v[36:39], v35 offset1:8
	s_wait_dscnt 0x0
	v_add_f64_e32 v[32:33], v[36:37], v[38:39]
	ds_store_b64 v34, v[32:33] offset:2048
	global_wb scope:SCOPE_DEV
	s_wait_storecnt 0x0
	s_wait_loadcnt_dscnt 0x0
	;; [unrolled: 8-line block ×3, first 2 shown]
	global_inv scope:SCOPE_DEV
	ds_load_2addr_b64 v[36:39], v35 offset1:2
	v_add_nc_u32_e32 v35, 0x800, v34
	s_wait_dscnt 0x0
	v_add_f64_e32 v[32:33], v[36:37], v[38:39]
	ds_store_b64 v34, v[32:33] offset:2048
	global_wb scope:SCOPE_DEV
	s_wait_storecnt 0x0
	s_wait_loadcnt_dscnt 0x0
	global_inv scope:SCOPE_DEV
	ds_load_2addr_b64 v[36:39], v35 offset1:1
	s_wait_dscnt 0x0
	v_add_f64_e32 v[32:33], v[36:37], v[38:39]
	ds_store_b64 v34, v[32:33] offset:2048
	global_wb scope:SCOPE_DEV
	s_wait_storecnt 0x0
	s_wait_loadcnt_dscnt 0x0
	global_inv scope:SCOPE_DEV
.LBB2_247:                              ;   in Loop: Header=BB2_27 Depth=2
	s_or_b32 exec_lo, exec_lo, s9
	s_and_saveexec_b32 s9, s2
	s_cbranch_execz .LBB2_249
; %bb.248:                              ;   in Loop: Header=BB2_27 Depth=2
	ds_load_b64 v[32:33], v52 offset:2048
	s_wait_dscnt 0x0
	v_cmp_gt_f64_e32 vcc_lo, 0x10000000, v[32:33]
	s_and_b32 s10, vcc_lo, exec_lo
	s_cselect_b32 s10, 0x100, 0
	s_delay_alu instid0(SALU_CYCLE_1) | instskip(SKIP_1) | instid1(VALU_DEP_1)
	v_ldexp_f64 v[32:33], v[32:33], s10
	s_cselect_b32 s10, 0xffffff80, 0
	v_rsq_f64_e32 v[34:35], v[32:33]
	v_cmp_class_f64_e64 vcc_lo, v[32:33], 0x260
	s_delay_alu instid0(TRANS32_DEP_1) | instskip(SKIP_1) | instid1(VALU_DEP_1)
	v_mul_f64_e32 v[36:37], v[32:33], v[34:35]
	v_mul_f64_e32 v[34:35], 0.5, v[34:35]
	v_fma_f64 v[38:39], -v[34:35], v[36:37], 0.5
	s_delay_alu instid0(VALU_DEP_1) | instskip(SKIP_1) | instid1(VALU_DEP_2)
	v_fmac_f64_e32 v[36:37], v[36:37], v[38:39]
	v_fmac_f64_e32 v[34:35], v[34:35], v[38:39]
	v_fma_f64 v[38:39], -v[36:37], v[36:37], v[32:33]
	s_delay_alu instid0(VALU_DEP_1) | instskip(NEXT) | instid1(VALU_DEP_1)
	v_fmac_f64_e32 v[36:37], v[38:39], v[34:35]
	v_fma_f64 v[38:39], -v[36:37], v[36:37], v[32:33]
	s_delay_alu instid0(VALU_DEP_1) | instskip(NEXT) | instid1(VALU_DEP_1)
	v_fmac_f64_e32 v[36:37], v[38:39], v[34:35]
	v_ldexp_f64 v[34:35], v[36:37], s10
	s_delay_alu instid0(VALU_DEP_1)
	v_dual_cndmask_b32 v33, v35, v33 :: v_dual_cndmask_b32 v32, v34, v32
	ds_store_b64 v52, v[32:33] offset:2048
.LBB2_249:                              ;   in Loop: Header=BB2_27 Depth=2
	s_or_b32 exec_lo, exec_lo, s9
	s_wait_loadcnt_dscnt 0x0
	s_barrier_signal -1
	s_barrier_wait -1
	ds_load_b32 v34, v52 offset:4096
	ds_load_b64 v[32:33], v52 offset:2048
	s_wait_dscnt 0x1
	global_load_b64 v[34:35], v34, s[48:49] offset:-8 scale_offset
	s_wait_loadcnt_dscnt 0x0
	s_barrier_signal -1
	s_barrier_wait -1
	s_and_saveexec_b32 s9, s5
	s_cbranch_execz .LBB2_252
; %bb.250:                              ;   in Loop: Header=BB2_27 Depth=2
	v_cmp_nle_f64_e32 vcc_lo, 0, v[34:35]
	s_mov_b32 s10, 0xbff00000
	s_mov_b32 s18, 0
	s_and_b32 s19, vcc_lo, exec_lo
	s_cselect_b32 s19, s10, 0x3ff00000
	s_delay_alu instid0(SALU_CYCLE_1) | instskip(NEXT) | instid1(VALU_DEP_1)
	v_div_scale_f64 v[34:35], null, v[32:33], v[32:33], s[18:19]
	v_rcp_f64_e32 v[36:37], v[34:35]
	v_nop
	s_delay_alu instid0(TRANS32_DEP_1) | instskip(NEXT) | instid1(VALU_DEP_1)
	v_fma_f64 v[38:39], -v[34:35], v[36:37], 1.0
	v_fmac_f64_e32 v[36:37], v[36:37], v[38:39]
	s_delay_alu instid0(VALU_DEP_1) | instskip(NEXT) | instid1(VALU_DEP_1)
	v_fma_f64 v[38:39], -v[34:35], v[36:37], 1.0
	v_fmac_f64_e32 v[36:37], v[36:37], v[38:39]
	v_div_scale_f64 v[38:39], vcc_lo, s[18:19], v[32:33], s[18:19]
	s_delay_alu instid0(VALU_DEP_1) | instskip(NEXT) | instid1(VALU_DEP_1)
	v_mul_f64_e32 v[40:41], v[38:39], v[36:37]
	v_fma_f64 v[34:35], -v[34:35], v[40:41], v[38:39]
	s_delay_alu instid0(VALU_DEP_1) | instskip(SKIP_1) | instid1(VALU_DEP_2)
	v_div_fmas_f64 v[34:35], v[34:35], v[36:37], v[40:41]
	v_mov_b32_e32 v36, v0
	v_div_fixup_f64 v[32:33], v[34:35], v[32:33], s[18:19]
	v_mov_b64_e32 v[34:35], v[8:9]
.LBB2_251:                              ;   Parent Loop BB2_17 Depth=1
                                        ;     Parent Loop BB2_27 Depth=2
                                        ; =>    This Inner Loop Header: Depth=3
	global_load_b64 v[38:39], v[34:35], off
	v_add_nc_u32_e32 v36, 0x100, v36
	s_delay_alu instid0(VALU_DEP_1)
	v_cmp_lt_i32_e32 vcc_lo, s88, v36
	s_or_b32 s18, vcc_lo, s18
	s_wait_loadcnt 0x0
	v_mul_f64_e32 v[38:39], v[32:33], v[38:39]
	global_store_b64 v[34:35], v[38:39], off
	s_wait_xcnt 0x0
	v_add_nc_u64_e32 v[34:35], 0x800, v[34:35]
	s_and_not1_b32 exec_lo, exec_lo, s18
	s_cbranch_execnz .LBB2_251
.LBB2_252:                              ;   in Loop: Header=BB2_27 Depth=2
	s_or_b32 exec_lo, exec_lo, s9
	v_mov_b64_e32 v[32:33], v[30:31]
	s_wait_storecnt 0x0
	s_barrier_signal -1
	s_barrier_wait -1
	s_and_saveexec_b32 s10, s4
	s_cbranch_execz .LBB2_257
.LBB2_253:                              ;   in Loop: Header=BB2_27 Depth=2
	v_mov_b32_e32 v34, v0
	s_mov_b32 s18, 0
	s_branch .LBB2_255
.LBB2_254:                              ;   in Loop: Header=BB2_255 Depth=3
	s_wait_xcnt 0x0
	s_or_b32 exec_lo, exec_lo, s9
	v_add_nc_u32_e32 v35, vcc_hi, v34
	v_add_nc_u32_e32 v34, 0x100, v34
	s_wait_loadcnt 0x0
	global_store_b64 v35, v[30:31], s[46:47] scale_offset
	v_cmp_le_i32_e32 vcc_lo, s24, v34
	s_or_b32 s18, vcc_lo, s18
	s_wait_xcnt 0x0
	s_and_not1_b32 exec_lo, exec_lo, s18
	s_cbranch_execz .LBB2_257
.LBB2_255:                              ;   Parent Loop BB2_17 Depth=1
                                        ;     Parent Loop BB2_27 Depth=2
                                        ; =>    This Inner Loop Header: Depth=3
	s_delay_alu instid0(VALU_DEP_1) | instskip(SKIP_3) | instid1(SALU_CYCLE_1)
	v_cmp_le_i32_e32 vcc_lo, s84, v34
	v_cmp_gt_i32_e64 s9, s86, v34
	v_mov_b64_e32 v[30:31], 0
	s_and_b32 s19, vcc_lo, s9
	s_and_saveexec_b32 s9, s19
	s_cbranch_execz .LBB2_254
; %bb.256:                              ;   in Loop: Header=BB2_255 Depth=3
	v_add_nc_u32_e32 v30, s89, v34
	global_load_b64 v[30:31], v30, s[48:49] scale_offset
	s_branch .LBB2_254
.LBB2_257:                              ;   in Loop: Header=BB2_27 Depth=2
	s_or_b32 exec_lo, exec_lo, s10
	s_add_co_i32 s98, s98, 1
	s_add_co_i32 s104, s104, 1
	s_add_co_i32 vcc_hi, vcc_hi, s29
	s_cmp_ge_i32 s98, s44
	s_wait_storecnt 0x0
	s_barrier_signal -1
	s_barrier_wait -1
	s_cselect_b32 s9, -1, 0
	s_mov_b32 s10, s25
	s_and_b32 vcc_lo, exec_lo, s9
	s_cbranch_vccz .LBB2_27
	s_branch .LBB2_15
.LBB2_258:
	s_wait_xcnt 0x0
	s_and_saveexec_b32 s0, s2
	s_cbranch_execz .LBB2_260
; %bb.259:
	v_mov_b32_e32 v0, 0
	v_readlane_b32 s0, v62, 0
	v_readlane_b32 s1, v62, 1
	ds_load_b32 v1, v0
	s_add_nc_u64 s[0:1], s[14:15], s[0:1]
	s_wait_dscnt 0x0
	global_store_b32 v0, v1, s[0:1]
.LBB2_260:
	s_endpgm
	.section	.rodata,"a",@progbits
	.p2align	6, 0x0
	.amdhsa_kernel _ZN9rocsolver6v33100L12stein_kernelIddPdEEviPT0_lS4_lPiS4_lS5_lS5_lT1_iilS5_lS5_S4_S5_S3_S3_
		.amdhsa_group_segment_fixed_size 8
		.amdhsa_private_segment_fixed_size 0
		.amdhsa_kernarg_size 176
		.amdhsa_user_sgpr_count 2
		.amdhsa_user_sgpr_dispatch_ptr 0
		.amdhsa_user_sgpr_queue_ptr 0
		.amdhsa_user_sgpr_kernarg_segment_ptr 1
		.amdhsa_user_sgpr_dispatch_id 0
		.amdhsa_user_sgpr_kernarg_preload_length 0
		.amdhsa_user_sgpr_kernarg_preload_offset 0
		.amdhsa_user_sgpr_private_segment_size 0
		.amdhsa_wavefront_size32 1
		.amdhsa_uses_dynamic_stack 0
		.amdhsa_enable_private_segment 0
		.amdhsa_system_sgpr_workgroup_id_x 1
		.amdhsa_system_sgpr_workgroup_id_y 1
		.amdhsa_system_sgpr_workgroup_id_z 0
		.amdhsa_system_sgpr_workgroup_info 0
		.amdhsa_system_vgpr_workitem_id 0
		.amdhsa_next_free_vgpr 63
		.amdhsa_next_free_sgpr 105
		.amdhsa_named_barrier_count 0
		.amdhsa_reserve_vcc 1
		.amdhsa_float_round_mode_32 0
		.amdhsa_float_round_mode_16_64 0
		.amdhsa_float_denorm_mode_32 3
		.amdhsa_float_denorm_mode_16_64 3
		.amdhsa_fp16_overflow 0
		.amdhsa_memory_ordered 1
		.amdhsa_forward_progress 1
		.amdhsa_inst_pref_size 87
		.amdhsa_round_robin_scheduling 0
		.amdhsa_exception_fp_ieee_invalid_op 0
		.amdhsa_exception_fp_denorm_src 0
		.amdhsa_exception_fp_ieee_div_zero 0
		.amdhsa_exception_fp_ieee_overflow 0
		.amdhsa_exception_fp_ieee_underflow 0
		.amdhsa_exception_fp_ieee_inexact 0
		.amdhsa_exception_int_div_zero 0
	.end_amdhsa_kernel
	.section	.text._ZN9rocsolver6v33100L12stein_kernelIddPdEEviPT0_lS4_lPiS4_lS5_lS5_lT1_iilS5_lS5_S4_S5_S3_S3_,"axG",@progbits,_ZN9rocsolver6v33100L12stein_kernelIddPdEEviPT0_lS4_lPiS4_lS5_lS5_lT1_iilS5_lS5_S4_S5_S3_S3_,comdat
.Lfunc_end2:
	.size	_ZN9rocsolver6v33100L12stein_kernelIddPdEEviPT0_lS4_lPiS4_lS5_lS5_lT1_iilS5_lS5_S4_S5_S3_S3_, .Lfunc_end2-_ZN9rocsolver6v33100L12stein_kernelIddPdEEviPT0_lS4_lPiS4_lS5_lS5_lT1_iilS5_lS5_S4_S5_S3_S3_
                                        ; -- End function
	.set _ZN9rocsolver6v33100L12stein_kernelIddPdEEviPT0_lS4_lPiS4_lS5_lS5_lT1_iilS5_lS5_S4_S5_S3_S3_.num_vgpr, 63
	.set _ZN9rocsolver6v33100L12stein_kernelIddPdEEviPT0_lS4_lPiS4_lS5_lS5_lT1_iilS5_lS5_S4_S5_S3_S3_.num_agpr, 0
	.set _ZN9rocsolver6v33100L12stein_kernelIddPdEEviPT0_lS4_lPiS4_lS5_lS5_lT1_iilS5_lS5_S4_S5_S3_S3_.numbered_sgpr, 105
	.set _ZN9rocsolver6v33100L12stein_kernelIddPdEEviPT0_lS4_lPiS4_lS5_lS5_lT1_iilS5_lS5_S4_S5_S3_S3_.num_named_barrier, 0
	.set _ZN9rocsolver6v33100L12stein_kernelIddPdEEviPT0_lS4_lPiS4_lS5_lS5_lT1_iilS5_lS5_S4_S5_S3_S3_.private_seg_size, 0
	.set _ZN9rocsolver6v33100L12stein_kernelIddPdEEviPT0_lS4_lPiS4_lS5_lS5_lT1_iilS5_lS5_S4_S5_S3_S3_.uses_vcc, 1
	.set _ZN9rocsolver6v33100L12stein_kernelIddPdEEviPT0_lS4_lPiS4_lS5_lS5_lT1_iilS5_lS5_S4_S5_S3_S3_.uses_flat_scratch, 0
	.set _ZN9rocsolver6v33100L12stein_kernelIddPdEEviPT0_lS4_lPiS4_lS5_lS5_lT1_iilS5_lS5_S4_S5_S3_S3_.has_dyn_sized_stack, 0
	.set _ZN9rocsolver6v33100L12stein_kernelIddPdEEviPT0_lS4_lPiS4_lS5_lS5_lT1_iilS5_lS5_S4_S5_S3_S3_.has_recursion, 0
	.set _ZN9rocsolver6v33100L12stein_kernelIddPdEEviPT0_lS4_lPiS4_lS5_lS5_lT1_iilS5_lS5_S4_S5_S3_S3_.has_indirect_call, 0
	.section	.AMDGPU.csdata,"",@progbits
; Kernel info:
; codeLenInByte = 11032
; TotalNumSgprs: 107
; NumVgprs: 63
; ScratchSize: 0
; MemoryBound: 1
; FloatMode: 240
; IeeeMode: 1
; LDSByteSize: 8 bytes/workgroup (compile time only)
; SGPRBlocks: 0
; VGPRBlocks: 3
; NumSGPRsForWavesPerEU: 107
; NumVGPRsForWavesPerEU: 63
; NamedBarCnt: 0
; Occupancy: 16
; WaveLimiterHint : 1
; COMPUTE_PGM_RSRC2:SCRATCH_EN: 0
; COMPUTE_PGM_RSRC2:USER_SGPR: 2
; COMPUTE_PGM_RSRC2:TRAP_HANDLER: 0
; COMPUTE_PGM_RSRC2:TGID_X_EN: 1
; COMPUTE_PGM_RSRC2:TGID_Y_EN: 1
; COMPUTE_PGM_RSRC2:TGID_Z_EN: 0
; COMPUTE_PGM_RSRC2:TIDIG_COMP_CNT: 0
	.section	.text._ZN9rocsolver6v33100L12stein_kernelI19rocblas_complex_numIfEfPS3_EEviPT0_lS6_lPiS6_lS7_lS7_lT1_iilS7_lS7_S6_S7_S5_S5_,"axG",@progbits,_ZN9rocsolver6v33100L12stein_kernelI19rocblas_complex_numIfEfPS3_EEviPT0_lS6_lPiS6_lS7_lS7_lT1_iilS7_lS7_S6_S7_S5_S5_,comdat
	.globl	_ZN9rocsolver6v33100L12stein_kernelI19rocblas_complex_numIfEfPS3_EEviPT0_lS6_lPiS6_lS7_lS7_lT1_iilS7_lS7_S6_S7_S5_S5_ ; -- Begin function _ZN9rocsolver6v33100L12stein_kernelI19rocblas_complex_numIfEfPS3_EEviPT0_lS6_lPiS6_lS7_lS7_lT1_iilS7_lS7_S6_S7_S5_S5_
	.p2align	8
	.type	_ZN9rocsolver6v33100L12stein_kernelI19rocblas_complex_numIfEfPS3_EEviPT0_lS6_lPiS6_lS7_lS7_lT1_iilS7_lS7_S6_S7_S5_S5_,@function
_ZN9rocsolver6v33100L12stein_kernelI19rocblas_complex_numIfEfPS3_EEviPT0_lS6_lPiS6_lS7_lS7_lT1_iilS7_lS7_S6_S7_S5_S5_: ; @_ZN9rocsolver6v33100L12stein_kernelI19rocblas_complex_numIfEfPS3_EEviPT0_lS6_lPiS6_lS7_lS7_lT1_iilS7_lS7_S6_S7_S5_S5_
; %bb.0:
	s_load_b512 s[4:19], s[0:1], 0x8
	s_bfe_u32 s2, ttmp6, 0x40010
	s_bfe_u32 s3, ttmp6, 0x40004
	s_add_co_i32 s2, s2, 1
	s_getreg_b32 s20, hwreg(HW_REG_IB_STS2, 6, 4)
	s_mul_i32 s2, ttmp7, s2
	s_delay_alu instid0(SALU_CYCLE_1) | instskip(SKIP_2) | instid1(SALU_CYCLE_1)
	s_add_co_i32 s3, s3, s2
	s_cmp_eq_u32 s20, 0
	s_cselect_b32 s48, ttmp7, s3
	s_ashr_i32 s49, s48, 31
	s_delay_alu instid0(SALU_CYCLE_1)
	s_lshl_b64 s[34:35], s[48:49], 2
	s_wait_kmcnt 0x0
	s_add_nc_u64 s[2:3], s[12:13], s[34:35]
	s_load_b32 s44, s[2:3], 0x0
	s_wait_kmcnt 0x0
	s_cmp_lt_i32 s44, 1
	s_cbranch_scc1 .LBB3_278
; %bb.1:
	s_clause 0x1
	s_load_b256 s[36:43], s[0:1], 0x70
	s_load_b128 s[28:31], s[0:1], 0x90
	s_mov_b64 s[46:47], 0
	s_wait_kmcnt 0x0
	s_cmp_eq_u64 s[38:39], 0
	s_cbranch_scc1 .LBB3_3
; %bb.2:
	s_mul_u64 s[2:3], s[40:41], s[48:49]
	s_delay_alu instid0(SALU_CYCLE_1) | instskip(NEXT) | instid1(SALU_CYCLE_1)
	s_lshl_b64 s[2:3], s[2:3], 2
	s_add_nc_u64 s[46:47], s[38:39], s[2:3]
.LBB3_3:
	v_cmp_eq_u32_e64 s2, 0, v0
	s_and_saveexec_b32 s3, s2
; %bb.4:
	v_mov_b32_e32 v1, 0
	ds_store_b32 v1, v1
; %bb.5:
	s_or_b32 exec_lo, exec_lo, s3
	v_cmp_gt_u32_e32 vcc_lo, s44, v0
	s_cmp_lg_u64 s[46:47], 0
	s_cselect_b32 s25, -1, 0
	s_delay_alu instid0(SALU_CYCLE_1) | instskip(NEXT) | instid1(SALU_CYCLE_1)
	s_and_b32 s12, vcc_lo, s25
	s_and_saveexec_b32 s3, s12
	s_cbranch_execz .LBB3_13
; %bb.6:
	v_xad_u32 v1, v0, -1, s44
	v_mov_b32_e32 v2, v0
	s_mov_b32 s13, -1
	s_mov_b32 s12, exec_lo
	s_delay_alu instid0(VALU_DEP_2)
	v_cmpx_lt_u32_e32 0xff, v1
	s_cbranch_execz .LBB3_10
; %bb.7:
	v_dual_lshrrev_b32 v1, 8, v1 :: v_dual_mov_b32 v3, 0
	s_mov_b32 s13, 0
	s_delay_alu instid0(VALU_DEP_1) | instskip(SKIP_1) | instid1(VALU_DEP_2)
	v_add_nc_u32_e32 v6, 1, v1
	v_or_b32_e32 v1, 0x100, v0
	v_and_b32_e32 v7, 0x1fffffe, v6
	s_delay_alu instid0(VALU_DEP_2) | instskip(NEXT) | instid1(VALU_DEP_2)
	v_mov_b64_e32 v[4:5], v[0:1]
	v_mov_b32_e32 v8, v7
.LBB3_8:                                ; =>This Inner Loop Header: Depth=1
	s_delay_alu instid0(VALU_DEP_1) | instskip(SKIP_1) | instid1(VALU_DEP_2)
	v_dual_mov_b32 v2, v4 :: v_dual_add_nc_u32 v8, -2, v8
	v_add_nc_u32_e32 v4, 0x200, v4
	v_lshl_add_u64 v[10:11], v[2:3], 2, s[46:47]
	v_dual_mov_b32 v2, v5 :: v_dual_add_nc_u32 v5, 0x200, v5
	s_delay_alu instid0(VALU_DEP_4) | instskip(NEXT) | instid1(VALU_DEP_2)
	v_cmp_eq_u32_e32 vcc_lo, 0, v8
	v_lshl_add_u64 v[12:13], v[2:3], 2, s[46:47]
	s_clause 0x1
	global_store_b32 v[10:11], v3, off
	global_store_b32 v[12:13], v3, off
	s_or_b32 s13, vcc_lo, s13
	s_wait_xcnt 0x0
	s_and_not1_b32 exec_lo, exec_lo, s13
	s_cbranch_execnz .LBB3_8
; %bb.9:
	s_or_b32 exec_lo, exec_lo, s13
	v_cmp_ne_u32_e32 vcc_lo, v6, v7
	v_lshl_or_b32 v2, v7, 8, v0
	s_or_not1_b32 s13, vcc_lo, exec_lo
.LBB3_10:
	s_or_b32 exec_lo, exec_lo, s12
	s_delay_alu instid0(SALU_CYCLE_1)
	s_and_b32 exec_lo, exec_lo, s13
	s_cbranch_execz .LBB3_13
; %bb.11:
	v_mov_b32_e32 v3, 0
	s_mov_b32 s12, 0
	s_delay_alu instid0(VALU_DEP_1)
	v_lshl_add_u64 v[4:5], v[2:3], 2, s[46:47]
.LBB3_12:                               ; =>This Inner Loop Header: Depth=1
	v_add_nc_u32_e32 v2, 0x100, v2
	global_store_b32 v[4:5], v3, off
	s_wait_xcnt 0x0
	v_add_nc_u64_e32 v[4:5], 0x400, v[4:5]
	v_cmp_le_i32_e32 vcc_lo, s44, v2
	s_or_b32 s12, vcc_lo, s12
	s_delay_alu instid0(SALU_CYCLE_1)
	s_and_not1_b32 exec_lo, exec_lo, s12
	s_cbranch_execnz .LBB3_12
.LBB3_13:
                                        ; implicit-def: $vgpr44 : SGPR spill to VGPR lane
	v_writelane_b32 v44, s36, 0
	v_writelane_b32 v44, s37, 1
	;; [unrolled: 1-line block ×8, first 2 shown]
	s_or_b32 exec_lo, exec_lo, s3
	s_load_b256 s[36:43], s[0:1], 0x48
	v_mov_b32_e32 v1, s44
	s_wait_kmcnt 0x0
	s_mul_u64 s[12:13], s[36:37], s[48:49]
	s_delay_alu instid0(SALU_CYCLE_1) | instskip(NEXT) | instid1(SALU_CYCLE_1)
	s_lshl_b64 s[12:13], s[12:13], 2
	s_add_nc_u64 s[18:19], s[18:19], s[12:13]
	global_load_b32 v14, v1, s[18:19] offset:-4 scale_offset
	s_wait_loadcnt 0x0
	v_cmp_gt_i32_e32 vcc_lo, 1, v14
	s_cbranch_vccnz .LBB3_276
; %bb.14:
	s_clause 0x2
	s_load_b64 s[22:23], s[0:1], 0xa0
	s_load_b32 s24, s[0:1], 0x0
	s_load_b64 s[12:13], s[0:1], 0x68
	v_readlane_b32 s52, v44, 0
	s_mul_u64 s[10:11], s[10:11], s[48:49]
	v_readlane_b32 s53, v44, 1
	s_mul_u64 s[20:21], s[40:41], s[48:49]
	s_lshl_b64 s[10:11], s[10:11], 2
	s_lshl_b64 s[50:51], s[20:21], 2
	s_add_nc_u64 s[20:21], s[8:9], s[10:11]
	s_mul_u64 s[6:7], s[6:7], s[48:49]
	s_mul_u64 s[26:27], s[52:53], s[48:49]
	;; [unrolled: 1-line block ×3, first 2 shown]
	s_lshl_b64 s[6:7], s[6:7], 2
	s_lshl_b64 s[26:27], s[26:27], 3
	;; [unrolled: 1-line block ×3, first 2 shown]
	s_add_nc_u64 s[16:17], s[4:5], s[6:7]
	s_add_nc_u64 s[6:7], s[42:43], s[26:27]
	s_and_b32 s33, s2, s25
	s_mov_b32 s37, 0
	s_wait_kmcnt 0x0
	v_div_scale_f32 v1, null, s23, s23, 1.0
	v_div_scale_f32 v5, vcc_lo, 1.0, s23, 1.0
	s_mul_i32 s8, s24, 5
	v_rcp_f32_e32 v3, v1
	v_nop
	v_xor_b32_e32 v1, 0x80000000, v1
	v_max_num_f32_e64 v7, s22, s22
	s_ashr_i32 s9, s8, 31
	s_mul_i32 s42, s24, 3
	s_mul_u64 s[8:9], s[8:9], s[48:49]
	s_ashr_i32 s25, s24, 31
	v_fma_f32 v4, v1, v3, 1.0
	v_lshlrev_b32_e32 v2, 2, v0
	s_lshl_b64 s[8:9], s[8:9], 2
	s_ashr_i32 s11, s12, 31
	s_mov_b32 s10, s12
	s_delay_alu instid0(VALU_DEP_1) | instskip(SKIP_3) | instid1(VALU_DEP_1)
	v_dual_fmac_f32 v3, v4, v3 :: v_dual_add_nc_u32 v28, 8, v2
	s_ashr_i32 s43, s42, 31
	s_mul_u64 s[26:27], s[24:25], s[48:49]
	s_add_nc_u64 s[48:49], s[28:29], s[8:9]
	v_mul_f32_e32 v4, v5, v3
	s_lshl_b64 s[10:11], s[10:11], 3
	s_lshl_b64 s[66:67], s[42:43], 2
	v_readlane_b32 s54, v44, 2
	v_readlane_b32 s55, v44, 3
	v_fma_f32 v6, v1, v4, v5
	s_mov_b32 s45, s37
	s_add_nc_u64 s[54:55], s[6:7], s[10:11]
	s_add_nc_u64 s[6:7], s[8:9], s[66:67]
	s_lshl_b64 s[52:53], s[44:45], 2
	v_dual_fmac_f32 v4, v6, v3 :: v_dual_add_nc_u32 v6, s24, v0
	s_lshl_b64 s[60:61], s[24:25], 3
	s_add_nc_u64 s[6:7], s[28:29], s[6:7]
	s_add_nc_u64 s[14:15], s[14:15], s[40:41]
	s_delay_alu instid0(VALU_DEP_1)
	v_fmac_f32_e32 v5, v1, v4
	s_add_nc_u64 s[38:39], s[38:39], s[50:51]
	s_add_nc_u64 s[40:41], s[18:19], s[52:53]
	s_sub_nc_u64 s[50:51], 0, s[60:61]
	s_add_nc_u64 s[52:53], s[48:49], s[66:67]
	v_div_fmas_f32 v3, v5, v3, v4
	v_readlane_b32 s56, v44, 4
	v_readlane_b32 s57, v44, 5
	;; [unrolled: 1-line block ×4, first 2 shown]
	v_div_fixup_f32 v4, v3, s23, 1.0
	v_dual_max_num_f32 v30, 0, v7 :: v_dual_ashrrev_i32 v7, 31, v6
	v_mov_b32_e32 v3, 0
	s_lshl_b64 s[58:59], s[24:25], 2
	s_add_nc_u64 s[56:57], s[52:53], s[50:51]
	v_cmp_gt_u32_e64 s0, 0x80, v0
	v_lshl_add_u64 v[12:13], v[6:7], 2, s[48:49]
	v_mov_b64_e32 v[6:7], v[2:3]
	v_add_nc_u64_e32 v[8:9], s[48:49], v[2:3]
	v_add_nc_u64_e32 v[10:11], s[6:7], v[2:3]
	v_cmp_gt_u32_e64 s1, 64, v0
	v_add_nc_u64_e32 v[12:13], 4, v[12:13]
	v_cmp_gt_u32_e64 s3, 32, v0
	v_cmp_gt_i32_e64 s4, s24, v0
	v_not_b32_e32 v29, v0
	v_or_b32_e32 v1, 0x100, v0
	v_dual_mov_b32 v5, v4 :: v_dual_mov_b32 v31, 1.0
	v_dual_mov_b32 v32, 1 :: v_dual_mov_b32 v33, 8
	s_lshl_b64 s[26:27], s[26:27], 2
	s_add_nc_u64 s[58:59], s[56:57], s[58:59]
	s_add_nc_u64 s[30:31], s[30:31], s[26:27]
	s_add_nc_u64 s[60:61], s[58:59], s[60:61]
	s_add_nc_u64 s[62:63], s[20:21], 4
	s_add_nc_u64 s[64:65], s[16:17], 4
	s_lshl_b32 s25, s24, 1
	s_add_nc_u64 s[28:29], s[6:7], 8
	s_mov_b64 s[66:67], 0x3fb999999999999a
	s_mov_b64 s[68:69], 0x41dfffffff800000
	s_add_nc_u64 s[70:71], s[48:49], 4
	s_mov_b32 s72, s37
	s_mov_b32 s43, 0
                                        ; implicit-def: $sgpr11
                                        ; implicit-def: $vgpr35
                                        ; implicit-def: $sgpr75
                                        ; implicit-def: $sgpr100
                                        ; implicit-def: $sgpr45
	s_branch .LBB3_17
.LBB3_15:                               ;   in Loop: Header=BB3_17 Depth=1
	global_load_b32 v14, v3, s[40:41] offset:-4
	s_mov_b32 s43, s36
	s_mov_b32 s11, s89
.LBB3_16:                               ;   in Loop: Header=BB3_17 Depth=1
	s_add_co_i32 s72, s72, 1
	s_wait_loadcnt 0x0
	v_cmp_ge_i32_e32 vcc_lo, s72, v14
	s_cbranch_vccnz .LBB3_276
.LBB3_17:                               ; =>This Loop Header: Depth=1
                                        ;     Child Loop BB3_22 Depth 2
                                        ;     Child Loop BB3_26 Depth 2
                                        ;       Child Loop BB3_36 Depth 3
                                        ;       Child Loop BB3_39 Depth 3
	;; [unrolled: 1-line block ×5, first 2 shown]
                                        ;         Child Loop BB3_111 Depth 4
                                        ;         Child Loop BB3_117 Depth 4
	;; [unrolled: 1-line block ×5, first 2 shown]
                                        ;           Child Loop BB3_137 Depth 5
                                        ;         Child Loop BB3_155 Depth 4
                                        ;           Child Loop BB3_156 Depth 5
                                        ;           Child Loop BB3_158 Depth 5
                                        ;         Child Loop BB3_163 Depth 4
                                        ;       Child Loop BB3_206 Depth 3
                                        ;       Child Loop BB3_245 Depth 3
                                        ;       Child Loop BB3_262 Depth 3
                                        ;       Child Loop BB3_268 Depth 3
                                        ;       Child Loop BB3_272 Depth 3
	s_cmp_eq_u32 s72, 0
	s_wait_xcnt 0x0
	s_mov_b64 s[6:7], 0
	s_mov_b32 s74, s37
	s_cbranch_scc1 .LBB3_19
; %bb.18:                               ;   in Loop: Header=BB3_17 Depth=1
	v_mov_b32_e32 v2, s72
	s_mov_b32 s73, s37
	s_delay_alu instid0(SALU_CYCLE_1)
	s_mov_b64 s[6:7], s[72:73]
	global_load_b32 v2, v2, s[38:39] offset:-4 scale_offset
	s_wait_loadcnt 0x0
	v_readfirstlane_b32 s74, v2
.LBB3_19:                               ;   in Loop: Header=BB3_17 Depth=1
	s_lshl_b64 s[6:7], s[6:7], 2
	s_delay_alu instid0(VALU_DEP_1)
	s_not_b32 s5, s74
	s_add_nc_u64 s[6:7], s[38:39], s[6:7]
	global_load_b32 v2, v3, s[6:7]
	s_wait_loadcnt 0x0
	v_readfirstlane_b32 s76, v2
	v_subrev_nc_u32_e32 v34, s74, v2
	s_add_co_i32 s78, s5, s76
	s_delay_alu instid0(SALU_CYCLE_1) | instskip(SKIP_1) | instid1(SALU_CYCLE_1)
	s_cmp_lt_i32 s78, 1
	s_cselect_b32 s73, -1, 0
	s_and_b32 vcc_lo, exec_lo, s73
	s_cbranch_vccnz .LBB3_24
; %bb.20:                               ;   in Loop: Header=BB3_17 Depth=1
	v_dual_mov_b32 v2, s76 :: v_dual_mov_b32 v15, s74
	s_add_co_i32 s5, s76, -2
	s_clause 0x1
	global_load_b32 v16, v2, s[16:17] offset:-4 scale_offset
	global_load_b32 v18, v15, s[16:17] scale_offset
	s_clause 0x1
	global_load_b32 v2, v2, s[20:21] offset:-8 scale_offset
	global_load_b32 v15, v15, s[20:21] scale_offset
	s_wait_loadcnt 0x3
	v_and_b32_e32 v17, 0x7fffffff, v16
	s_wait_loadcnt 0x2
	v_and_b32_e32 v16, 0x7fffffff, v18
	;; [unrolled: 2-line block ×4, first 2 shown]
	v_readfirstlane_b32 s10, v15
	s_delay_alu instid0(VALU_DEP_2) | instskip(NEXT) | instid1(VALU_DEP_1)
	v_pk_add_f32 v[16:17], v[16:17], v[18:19]
	v_readfirstlane_b32 s6, v16
	s_delay_alu instid0(VALU_DEP_2)
	v_readfirstlane_b32 s7, v17
	s_cmp_lt_f32 s6, s7
	s_cselect_b32 s45, s7, s6
	s_cmp_ge_i32 s74, s5
	s_cbranch_scc1 .LBB3_23
; %bb.21:                               ;   in Loop: Header=BB3_17 Depth=1
	s_ashr_i32 s75, s74, 31
	s_mov_b32 s12, s74
	s_lshl_b64 s[8:9], s[74:75], 2
	s_delay_alu instid0(SALU_CYCLE_1)
	s_add_nc_u64 s[6:7], s[62:63], s[8:9]
	s_add_nc_u64 s[8:9], s[64:65], s[8:9]
.LBB3_22:                               ;   Parent Loop BB3_17 Depth=1
                                        ; =>  This Inner Loop Header: Depth=2
	s_clause 0x1
	global_load_b32 v2, v3, s[8:9]
	global_load_b32 v15, v3, s[6:7]
	s_and_b32 s27, s10, 0x7fffffff
	s_add_co_i32 s12, s12, 1
	s_wait_xcnt 0x0
	s_add_nc_u64 s[6:7], s[6:7], 4
	s_add_nc_u64 s[8:9], s[8:9], 4
	s_wait_loadcnt 0x1
	v_readfirstlane_b32 s26, v2
	s_wait_loadcnt 0x0
	v_readfirstlane_b32 s10, v15
	s_bitset0_b32 s26, 31
	s_delay_alu instid0(SALU_CYCLE_1) | instskip(SKIP_1) | instid1(SALU_CYCLE_2)
	s_add_f32 s26, s27, s26
	s_and_b32 s27, s10, 0x7fffffff
	s_add_f32 s26, s26, s27
	s_delay_alu instid0(SALU_CYCLE_3)
	s_cmp_lt_f32 s45, s26
	s_cselect_b32 s45, s26, s45
	s_cmp_lt_i32 s12, s5
	s_cbranch_scc1 .LBB3_22
.LBB3_23:                               ;   in Loop: Header=BB3_17 Depth=1
	v_cvt_f64_u32_e32 v[16:17], v34
	s_mul_f32 s75, s45, 0x3a83126f
	s_mov_b32 s100, s43
	s_delay_alu instid0(VALU_DEP_1) | instskip(SKIP_1) | instid1(VALU_DEP_2)
	v_div_scale_f64 v[18:19], null, v[16:17], v[16:17], s[66:67]
	v_div_scale_f64 v[24:25], vcc_lo, s[66:67], v[16:17], s[66:67]
	v_rcp_f64_e32 v[20:21], v[18:19]
	v_nop
	s_delay_alu instid0(TRANS32_DEP_1) | instskip(NEXT) | instid1(VALU_DEP_1)
	v_fma_f64 v[22:23], -v[18:19], v[20:21], 1.0
	v_fmac_f64_e32 v[20:21], v[20:21], v[22:23]
	s_delay_alu instid0(VALU_DEP_1) | instskip(NEXT) | instid1(VALU_DEP_1)
	v_fma_f64 v[22:23], -v[18:19], v[20:21], 1.0
	v_fmac_f64_e32 v[20:21], v[20:21], v[22:23]
	s_delay_alu instid0(VALU_DEP_1) | instskip(NEXT) | instid1(VALU_DEP_1)
	v_mul_f64_e32 v[22:23], v[24:25], v[20:21]
	v_fma_f64 v[18:19], -v[18:19], v[22:23], v[24:25]
	s_delay_alu instid0(VALU_DEP_1) | instskip(NEXT) | instid1(VALU_DEP_1)
	v_div_fmas_f64 v[18:19], v[18:19], v[20:21], v[22:23]
	v_div_fixup_f64 v[16:17], v[18:19], v[16:17], s[66:67]
	s_delay_alu instid0(VALU_DEP_1) | instskip(SKIP_2) | instid1(SALU_CYCLE_1)
	v_cmp_gt_f64_e32 vcc_lo, 0x10000000, v[16:17]
	s_and_b32 s5, vcc_lo, exec_lo
	s_cselect_b32 s5, 0x100, 0
	v_ldexp_f64 v[16:17], v[16:17], s5
	s_cselect_b32 s5, 0xffffff80, 0
	s_delay_alu instid0(VALU_DEP_1) | instskip(SKIP_1) | instid1(TRANS32_DEP_1)
	v_rsq_f64_e32 v[18:19], v[16:17]
	v_cmp_class_f64_e64 vcc_lo, v[16:17], 0x260
	v_mul_f64_e32 v[20:21], v[16:17], v[18:19]
	v_mul_f64_e32 v[18:19], 0.5, v[18:19]
	s_delay_alu instid0(VALU_DEP_1) | instskip(NEXT) | instid1(VALU_DEP_1)
	v_fma_f64 v[22:23], -v[18:19], v[20:21], 0.5
	v_fmac_f64_e32 v[20:21], v[20:21], v[22:23]
	v_fmac_f64_e32 v[18:19], v[18:19], v[22:23]
	s_delay_alu instid0(VALU_DEP_2) | instskip(NEXT) | instid1(VALU_DEP_1)
	v_fma_f64 v[22:23], -v[20:21], v[20:21], v[16:17]
	v_fmac_f64_e32 v[20:21], v[22:23], v[18:19]
	s_delay_alu instid0(VALU_DEP_1) | instskip(NEXT) | instid1(VALU_DEP_1)
	v_fma_f64 v[22:23], -v[20:21], v[20:21], v[16:17]
	v_fmac_f64_e32 v[20:21], v[22:23], v[18:19]
	s_delay_alu instid0(VALU_DEP_1) | instskip(NEXT) | instid1(VALU_DEP_1)
	v_ldexp_f64 v[18:19], v[20:21], s5
	v_dual_cndmask_b32 v17, v19, v17 :: v_dual_cndmask_b32 v16, v18, v16
	s_delay_alu instid0(VALU_DEP_1)
	v_cvt_f32_f64_e32 v35, v[16:17]
.LBB3_24:                               ;   in Loop: Header=BB3_17 Depth=1
	s_cmp_ge_i32 s43, s44
	s_cbranch_scc1 .LBB3_16
; %bb.25:                               ;   in Loop: Header=BB3_17 Depth=1
	s_wait_xcnt 0x1
	v_dual_add_nc_u32 v2, s76, v29 :: v_dual_add_nc_u32 v14, s74, v0
	v_cvt_f32_u32_e32 v17, v34
	s_ashr_i32 s77, s76, 31
	s_add_co_i32 s26, s78, s42
	s_delay_alu instid0(VALU_DEP_2)
	v_subrev_nc_u32_e32 v2, s74, v2
	s_lshl_b64 s[8:9], s[76:77], 2
	s_ashr_i32 s27, s26, 31
	s_add_nc_u64 s[80:81], s[16:17], s[8:9]
	s_lshl_b64 s[8:9], s[26:27], 2
	s_wait_xcnt 0x0
	v_dual_lshrrev_b32 v15, 8, v2 :: v_dual_mul_f32 v37, s45, v17
	s_mov_b32 s79, s37
	v_cmp_ge_i32_e64 s5, s78, v0
	v_cmp_gt_i32_e64 s6, s78, v0
	s_delay_alu instid0(VALU_DEP_3) | instskip(SKIP_3) | instid1(VALU_DEP_3)
	v_dual_add_nc_u32 v16, 1, v15 :: v_dual_ashrrev_i32 v15, 31, v14
	s_add_nc_u64 s[82:83], s[48:49], s[8:9]
	v_cmp_lt_u32_e64 s7, v0, v34
	v_cmp_lt_u32_e64 s8, 2, v34
	v_and_b32_e32 v36, 0x1fffffe, v16
	v_lshlrev_b64_e32 v[18:19], 2, v[14:15]
	v_cmp_lt_u32_e64 s9, 0xff, v2
	s_lshl_b64 s[26:27], s[78:79], 2
	s_add_co_i32 s77, s78, -1
	v_cmp_ne_u32_e64 s10, v16, v36
	v_lshl_or_b32 v14, v36, 8, v0
	s_add_nc_u64 s[84:85], s[30:31], s[26:27]
	v_add_nc_u64_e32 v[16:17], s[16:17], v[18:19]
	v_add_nc_u64_e32 v[18:19], s[20:21], v[18:19]
	s_add_nc_u64 s[86:87], s[52:53], s[26:27]
	s_sub_co_i32 s79, s76, s74
	s_mov_b32 s102, 0
	s_sub_co_i32 s101, 0, s74
	s_mul_i32 s103, s13, s43
	s_mov_b32 s88, s43
.LBB3_26:                               ;   Parent Loop BB3_17 Depth=1
                                        ; =>  This Loop Header: Depth=2
                                        ;       Child Loop BB3_36 Depth 3
                                        ;       Child Loop BB3_39 Depth 3
	;; [unrolled: 1-line block ×5, first 2 shown]
                                        ;         Child Loop BB3_111 Depth 4
                                        ;         Child Loop BB3_117 Depth 4
	;; [unrolled: 1-line block ×5, first 2 shown]
                                        ;           Child Loop BB3_137 Depth 5
                                        ;         Child Loop BB3_155 Depth 4
                                        ;           Child Loop BB3_156 Depth 5
                                        ;           Child Loop BB3_158 Depth 5
                                        ;         Child Loop BB3_163 Depth 4
                                        ;       Child Loop BB3_206 Depth 3
                                        ;       Child Loop BB3_245 Depth 3
                                        ;       Child Loop BB3_262 Depth 3
                                        ;       Child Loop BB3_268 Depth 3
                                        ;       Child Loop BB3_272 Depth 3
	s_delay_alu instid0(SALU_CYCLE_1) | instskip(SKIP_4) | instid1(VALU_DEP_1)
	v_mov_b32_e32 v2, s88
	s_mov_b32 s12, -1
	global_load_b32 v2, v2, s[18:19] scale_offset
	s_wait_loadcnt 0x0
	v_add_nc_u32_e32 v2, -1, v2
	v_cmp_ne_u32_e32 vcc_lo, s72, v2
	s_cbranch_vccnz .LBB3_30
; %bb.27:                               ;   in Loop: Header=BB3_26 Depth=2
	s_ashr_i32 s89, s88, 31
	s_and_b32 vcc_lo, exec_lo, s73
	s_lshl_b64 s[26:27], s[88:89], 2
	s_delay_alu instid0(SALU_CYCLE_1)
	s_add_nc_u64 s[26:27], s[14:15], s[26:27]
	global_load_b32 v2, v3, s[26:27]
	s_wait_loadcnt 0x0
	v_readfirstlane_b32 s89, v2
	s_cbranch_vccnz .LBB3_31
; %bb.28:                               ;   in Loop: Header=BB3_26 Depth=2
	s_and_b32 vcc_lo, exec_lo, s12
	s_cbranch_vccnz .LBB3_34
.LBB3_29:                               ;   in Loop: Header=BB3_26 Depth=2
	s_wait_storecnt_dscnt 0x0
	s_wait_xcnt 0x0
	s_and_saveexec_b32 s12, s4
	s_cbranch_execnz .LBB3_270
	s_branch .LBB3_274
.LBB3_30:                               ;   in Loop: Header=BB3_26 Depth=2
	s_mov_b32 s36, s88
	s_mov_b32 s89, s11
                                        ; implicit-def: $sgpr102
                                        ; implicit-def: $sgpr103
	s_and_b32 vcc_lo, exec_lo, s12
	s_cbranch_vccz .LBB3_275
	s_branch .LBB3_15
.LBB3_31:                               ;   in Loop: Header=BB3_26 Depth=2
	s_wait_xcnt 0x0
	s_and_saveexec_b32 s12, s2
	s_cbranch_execz .LBB3_33
; %bb.32:                               ;   in Loop: Header=BB3_26 Depth=2
	global_store_b32 v3, v31, s[48:49]
.LBB3_33:                               ;   in Loop: Header=BB3_26 Depth=2
	s_wait_xcnt 0x0
	s_or_b32 exec_lo, exec_lo, s12
	s_wait_storecnt_dscnt 0x0
	s_barrier_signal -1
	s_barrier_wait -1
	s_branch .LBB3_29
.LBB3_34:                               ;   in Loop: Header=BB3_26 Depth=2
	s_wait_xcnt 0x0
	s_and_saveexec_b32 s12, s5
	s_cbranch_execz .LBB3_37
; %bb.35:                               ;   in Loop: Header=BB3_26 Depth=2
	s_mul_i32 s26, s72, s44
	s_mov_b32 s36, 0
	s_add_co_i32 s26, s88, s26
	s_delay_alu instid0(SALU_CYCLE_1) | instskip(NEXT) | instid1(VALU_DEP_1)
	v_lshl_or_b32 v2, s26, 8, v0
	v_add_nc_u32_e32 v15, 1, v2
	v_sub_nc_u32_e32 v22, 0x7ffffffe, v2
	s_delay_alu instid0(VALU_DEP_2) | instskip(NEXT) | instid1(VALU_DEP_2)
	v_mul_hi_i32 v20, 0x40000001, v15
	v_cmp_gt_u32_e32 vcc_lo, 0x7fffff07, v22
	s_delay_alu instid0(VALU_DEP_2) | instskip(NEXT) | instid1(VALU_DEP_1)
	v_dual_lshrrev_b32 v21, 31, v20 :: v_dual_ashrrev_i32 v20, 29, v20
	v_add_nc_u32_e32 v20, v20, v21
	v_sub_nc_u32_e32 v21, 0xf7, v2
	s_delay_alu instid0(VALU_DEP_2) | instskip(NEXT) | instid1(VALU_DEP_2)
	v_mul_lo_u32 v20, 0x7fffffff, v20
	v_max_u32_e32 v21, 1, v21
	s_delay_alu instid0(VALU_DEP_1) | instskip(SKIP_1) | instid1(VALU_DEP_4)
	v_cndmask_b32_e32 v22, v21, v22, vcc_lo
	v_cmp_ne_u32_e32 vcc_lo, 0x7ffffffe, v2
	v_dual_mov_b32 v2, v0 :: v_dual_sub_nc_u32 v23, v15, v20
	v_mov_b64_e32 v[20:21], v[8:9]
	s_delay_alu instid0(VALU_DEP_2)
	v_dual_cndmask_b32 v15, 1, v22 :: v_dual_max_i32 v22, 1, v23
.LBB3_36:                               ;   Parent Loop BB3_17 Depth=1
                                        ;     Parent Loop BB3_26 Depth=2
                                        ; =>    This Inner Loop Header: Depth=3
	s_delay_alu instid0(VALU_DEP_1) | instskip(NEXT) | instid1(VALU_DEP_2)
	v_mul_hi_i32 v23, 0x5e4789c9, v22
	v_mul_hi_i32 v24, 0x4f7a09cd, v15
	v_add_nc_u32_e32 v2, 0x100, v2
	s_delay_alu instid0(VALU_DEP_3) | instskip(NEXT) | instid1(VALU_DEP_3)
	v_dual_lshrrev_b32 v25, 31, v23 :: v_dual_ashrrev_i32 v23, 14, v23
	v_dual_lshrrev_b32 v26, 31, v24 :: v_dual_ashrrev_i32 v24, 14, v24
	s_delay_alu instid0(VALU_DEP_1) | instskip(NEXT) | instid1(VALU_DEP_1)
	v_dual_add_nc_u32 v23, v23, v25 :: v_dual_add_nc_u32 v24, v24, v26
	v_mul_i32_i24_e32 v25, 0xadc8, v23
	v_mul_i32_i24_e32 v23, 0xfffff2b9, v23
	s_delay_alu instid0(VALU_DEP_3) | instskip(SKIP_1) | instid1(VALU_DEP_2)
	v_mul_i32_i24_e32 v26, 0xce26, v24
	v_mul_i32_i24_e32 v24, 0xfffff131, v24
	v_dual_sub_nc_u32 v22, v22, v25 :: v_dual_sub_nc_u32 v15, v15, v26
	s_delay_alu instid0(VALU_DEP_1) | instskip(NEXT) | instid1(VALU_DEP_2)
	v_mad_u32 v22, 0xbc8f, v22, v23
	v_mad_u32 v15, 0x9ef4, v15, v24
	s_delay_alu instid0(VALU_DEP_1) | instskip(NEXT) | instid1(VALU_DEP_1)
	v_dual_ashrrev_i32 v23, 31, v22 :: v_dual_ashrrev_i32 v24, 31, v15
	v_and_b32_e32 v23, 0x7fffffff, v23
	s_delay_alu instid0(VALU_DEP_2) | instskip(NEXT) | instid1(VALU_DEP_1)
	v_and_b32_e32 v24, 0x7fffff07, v24
	v_dual_add_nc_u32 v22, v23, v22 :: v_dual_add_nc_u32 v15, v24, v15
	s_delay_alu instid0(VALU_DEP_1) | instskip(NEXT) | instid1(VALU_DEP_1)
	v_sub_nc_u32_e32 v23, v22, v15
	v_ashrrev_i32_e32 v24, 31, v23
	s_delay_alu instid0(VALU_DEP_1) | instskip(NEXT) | instid1(VALU_DEP_1)
	v_and_b32_e32 v24, 0x7fffffff, v24
	v_add_nc_u32_e32 v23, v24, v23
	s_delay_alu instid0(VALU_DEP_1) | instskip(NEXT) | instid1(VALU_DEP_1)
	v_cvt_f64_i32_e32 v[24:25], v23
	v_div_scale_f64 v[26:27], null, s[68:69], s[68:69], v[24:25]
	v_div_scale_f64 v[42:43], vcc_lo, v[24:25], s[68:69], v[24:25]
	s_delay_alu instid0(VALU_DEP_2) | instskip(SKIP_1) | instid1(TRANS32_DEP_1)
	v_rcp_f64_e32 v[38:39], v[26:27]
	v_nop
	v_fma_f64 v[40:41], -v[26:27], v[38:39], 1.0
	s_delay_alu instid0(VALU_DEP_1) | instskip(NEXT) | instid1(VALU_DEP_1)
	v_fmac_f64_e32 v[38:39], v[38:39], v[40:41]
	v_fma_f64 v[40:41], -v[26:27], v[38:39], 1.0
	s_delay_alu instid0(VALU_DEP_1) | instskip(NEXT) | instid1(VALU_DEP_1)
	v_fmac_f64_e32 v[38:39], v[38:39], v[40:41]
	v_mul_f64_e32 v[40:41], v[42:43], v[38:39]
	s_delay_alu instid0(VALU_DEP_1) | instskip(NEXT) | instid1(VALU_DEP_1)
	v_fma_f64 v[26:27], -v[26:27], v[40:41], v[42:43]
	v_div_fmas_f64 v[26:27], v[26:27], v[38:39], v[40:41]
	v_cmp_lt_i32_e32 vcc_lo, s78, v2
	s_or_b32 s36, vcc_lo, s36
	s_delay_alu instid0(VALU_DEP_2) | instskip(NEXT) | instid1(VALU_DEP_1)
	v_div_fixup_f64 v[24:25], v[26:27], s[68:69], v[24:25]
	v_cvt_f32_f64_e32 v23, v[24:25]
	global_store_b32 v[20:21], v23, off
	s_wait_xcnt 0x0
	v_add_nc_u64_e32 v[20:21], 0x400, v[20:21]
	s_and_not1_b32 exec_lo, exec_lo, s36
	s_cbranch_execnz .LBB3_36
.LBB3_37:                               ;   in Loop: Header=BB3_26 Depth=2
	s_or_b32 exec_lo, exec_lo, s12
	s_and_saveexec_b32 s12, s6
	s_cbranch_execz .LBB3_40
; %bb.38:                               ;   in Loop: Header=BB3_26 Depth=2
	v_mov_b64_e32 v[20:21], v[18:19]
	v_mov_b64_e32 v[22:23], v[16:17]
	;; [unrolled: 1-line block ×4, first 2 shown]
	v_mov_b32_e32 v2, v0
	s_mov_b32 s36, 0
.LBB3_39:                               ;   Parent Loop BB3_17 Depth=1
                                        ;     Parent Loop BB3_26 Depth=2
                                        ; =>    This Inner Loop Header: Depth=3
	global_load_b32 v15, v[22:23], off
	v_add_nc_u32_e32 v38, s25, v2
	v_add_nc_u32_e32 v2, 0x100, v2
	s_wait_xcnt 0x0
	v_add_nc_u64_e32 v[22:23], 0x400, v[22:23]
	s_delay_alu instid0(VALU_DEP_2)
	v_cmp_le_i32_e32 vcc_lo, s78, v2
	s_or_b32 s36, vcc_lo, s36
	s_wait_loadcnt 0x0
	global_store_b32 v[26:27], v15, off
	global_load_b32 v15, v[20:21], off
	v_add_nc_u64_e32 v[26:27], 0x400, v[26:27]
	s_wait_xcnt 0x0
	v_add_nc_u64_e32 v[20:21], 0x400, v[20:21]
	s_wait_loadcnt 0x0
	global_store_b32 v38, v15, s[48:49] scale_offset
	global_store_b32 v[24:25], v15, off
	s_wait_xcnt 0x0
	v_add_nc_u64_e32 v[24:25], 0x400, v[24:25]
	s_and_not1_b32 exec_lo, exec_lo, s36
	s_cbranch_execnz .LBB3_39
.LBB3_40:                               ;   in Loop: Header=BB3_26 Depth=2
	s_or_b32 exec_lo, exec_lo, s12
	s_and_saveexec_b32 s12, s2
	s_cbranch_execz .LBB3_42
; %bb.41:                               ;   in Loop: Header=BB3_26 Depth=2
	global_load_b32 v2, v3, s[80:81] offset:-4
	s_wait_loadcnt 0x0
	global_store_b32 v3, v2, s[82:83]
.LBB3_42:                               ;   in Loop: Header=BB3_26 Depth=2
	s_wait_xcnt 0x0
	s_or_b32 exec_lo, exec_lo, s12
	s_mul_f32 s12, s22, s89
	s_cmp_lg_u32 s102, 0
	s_sub_f32 s26, s89, s11
	s_cselect_b32 s104, -1, 0
	s_bitset0_b32 s12, 31
	s_wait_storecnt_dscnt 0x0
	s_mul_f32 s27, s12, 0x41200000
	s_fmamk_f32 s12, s12, 0x41200000, s11
	s_barrier_signal -1
	s_barrier_wait -1
	s_cmp_lt_f32 s26, s27
	s_cselect_b32 s12, s12, s89
	s_cmp_eq_u32 s102, 0
	s_cselect_b32 s89, s89, s12
	s_and_saveexec_b32 s12, s2
	s_cbranch_execz .LBB3_69
; %bb.43:                               ;   in Loop: Header=BB3_26 Depth=2
	global_load_b32 v2, v3, s[52:53]
	s_mov_b64 s[90:91], 0
	s_mov_b32 s36, 1
	global_store_b32 v3, v3, s[84:85]
	s_wait_loadcnt 0x0
	v_subrev_f32_e32 v2, s89, v2
	s_clause 0x1
	global_store_b32 v3, v2, s[52:53]
	global_load_b32 v15, v3, s[56:57] offset:4
	s_wait_xcnt 0x1
	v_and_b32_e32 v2, 0x7fffffff, v2
	s_wait_loadcnt 0x0
	v_and_b32_e32 v15, 0x7fffffff, v15
	s_delay_alu instid0(VALU_DEP_1)
	v_add_f32_e32 v2, v2, v15
	s_branch .LBB3_45
.LBB3_44:                               ;   in Loop: Header=BB3_45 Depth=3
	s_add_co_i32 s36, s36, 1
	s_add_nc_u64 s[90:91], s[90:91], 4
	s_cmp_eq_u32 s79, s36
	s_cbranch_scc1 .LBB3_66
.LBB3_45:                               ;   Parent Loop BB3_17 Depth=1
                                        ;     Parent Loop BB3_26 Depth=2
                                        ; =>    This Inner Loop Header: Depth=3
	s_wait_xcnt 0x0
	s_add_nc_u64 s[96:97], s[52:53], s[90:91]
	s_add_nc_u64 s[92:93], s[58:59], s[90:91]
	global_load_b32 v15, v3, s[96:97] offset:4
	s_add_co_i32 s26, s36, -1
	s_add_nc_u64 s[94:95], s[56:57], s[90:91]
	s_cmp_lt_u32 s26, s77
	s_cselect_b32 vcc_hi, -1, 0
	s_cmp_ge_u32 s26, s77
	s_wait_loadcnt 0x0
	v_subrev_f32_e32 v20, s89, v15
	s_clause 0x1
	global_store_b32 v3, v20, s[96:97] offset:4
	global_load_b32 v22, v3, s[92:93]
	v_and_b32_e32 v15, 0x7fffffff, v20
	s_wait_loadcnt 0x0
	v_and_b32_e32 v23, 0x7fffffff, v22
	s_delay_alu instid0(VALU_DEP_1)
	v_add_f32_e32 v15, v15, v23
	s_cbranch_scc1 .LBB3_47
; %bb.46:                               ;   in Loop: Header=BB3_45 Depth=3
	global_load_b32 v21, v3, s[94:95] offset:8
	s_wait_loadcnt 0x0
	v_and_b32_e32 v21, 0x7fffffff, v21
	s_delay_alu instid0(VALU_DEP_1)
	v_add_f32_e32 v15, v15, v21
.LBB3_47:                               ;   in Loop: Header=BB3_45 Depth=3
	global_load_b32 v24, v3, s[96:97]
	s_wait_loadcnt 0x0
	v_cmp_eq_f32_e32 vcc_lo, 0, v24
	s_cbranch_vccnz .LBB3_58
; %bb.48:                               ;   in Loop: Header=BB3_45 Depth=3
	v_and_b32_e32 v21, 0x7fffffff, v24
	s_delay_alu instid0(VALU_DEP_1) | instskip(SKIP_1) | instid1(VALU_DEP_2)
	v_div_scale_f32 v25, null, v2, v2, v21
	v_div_scale_f32 v21, vcc_lo, v21, v2, v21
	v_rcp_f32_e32 v26, v25
	v_nop
	v_xor_b32_e32 v25, 0x80000000, v25
	s_delay_alu instid0(TRANS32_DEP_1) | instid1(VALU_DEP_1)
	v_fma_f32 v27, v25, v26, 1.0
	s_delay_alu instid0(VALU_DEP_1) | instskip(NEXT) | instid1(VALU_DEP_1)
	v_fmac_f32_e32 v26, v27, v26
	v_mul_f32_e32 v27, v21, v26
	s_delay_alu instid0(VALU_DEP_1) | instskip(NEXT) | instid1(VALU_DEP_1)
	v_fma_f32 v38, v25, v27, v21
	v_fmac_f32_e32 v27, v38, v26
	s_delay_alu instid0(VALU_DEP_1) | instskip(NEXT) | instid1(VALU_DEP_1)
	v_fmac_f32_e32 v21, v25, v27
	v_div_fmas_f32 v21, v21, v26, v27
	s_delay_alu instid0(VALU_DEP_1)
	v_div_fixup_f32 v21, v21, v2, |v24|
	v_cmp_neq_f32_e32 vcc_lo, 0, v22
	s_add_nc_u64 s[98:99], s[30:31], s[90:91]
	s_cbranch_vccz .LBB3_59
.LBB3_49:                               ;   in Loop: Header=BB3_45 Depth=3
	v_div_scale_f32 v25, null, v15, v15, v23
	v_div_scale_f32 v23, vcc_lo, v23, v15, v23
	s_mov_b32 s26, -1
	v_rcp_f32_e32 v26, v25
	v_nop
	v_xor_b32_e32 v25, 0x80000000, v25
	s_delay_alu instid0(TRANS32_DEP_1) | instid1(VALU_DEP_1)
	v_fma_f32 v27, v25, v26, 1.0
	s_delay_alu instid0(VALU_DEP_1) | instskip(NEXT) | instid1(VALU_DEP_1)
	v_fmac_f32_e32 v26, v27, v26
	v_mul_f32_e32 v27, v23, v26
	s_delay_alu instid0(VALU_DEP_1) | instskip(NEXT) | instid1(VALU_DEP_1)
	v_fma_f32 v38, v25, v27, v23
	v_fmac_f32_e32 v27, v38, v26
	s_delay_alu instid0(VALU_DEP_1) | instskip(NEXT) | instid1(VALU_DEP_1)
	v_fmac_f32_e32 v23, v25, v27
	v_div_fmas_f32 v23, v23, v26, v27
	s_delay_alu instid0(VALU_DEP_1) | instskip(NEXT) | instid1(VALU_DEP_1)
	v_div_fixup_f32 v23, v23, v15, |v22|
	v_cmp_nle_f32_e32 vcc_lo, v23, v21
	s_cbranch_vccnz .LBB3_53
; %bb.50:                               ;   in Loop: Header=BB3_45 Depth=3
	v_div_scale_f32 v25, null, v24, v24, v22
	v_div_scale_f32 v38, vcc_lo, v22, v24, v22
	s_delay_alu instid0(VALU_DEP_2)
	v_rcp_f32_e32 v26, v25
	v_nop
	v_xor_b32_e32 v25, 0x80000000, v25
	s_delay_alu instid0(TRANS32_DEP_1) | instid1(VALU_DEP_1)
	v_fma_f32 v27, v25, v26, 1.0
	s_delay_alu instid0(VALU_DEP_1) | instskip(NEXT) | instid1(VALU_DEP_1)
	v_fmac_f32_e32 v26, v27, v26
	v_mul_f32_e32 v27, v38, v26
	s_delay_alu instid0(VALU_DEP_1) | instskip(NEXT) | instid1(VALU_DEP_1)
	v_fma_f32 v39, v25, v27, v38
	v_fmac_f32_e32 v27, v39, v26
	s_delay_alu instid0(VALU_DEP_1) | instskip(NEXT) | instid1(VALU_DEP_1)
	v_fmac_f32_e32 v38, v25, v27
	v_div_fmas_f32 v25, v38, v26, v27
	s_and_not1_b32 vcc_lo, exec_lo, vcc_hi
	s_delay_alu instid0(VALU_DEP_1)
	v_div_fixup_f32 v25, v25, v24, v22
	s_clause 0x2
	global_store_b32 v3, v25, s[92:93]
	global_load_b32 v26, v3, s[96:97] offset:4
	global_load_b32 v27, v3, s[94:95] offset:4
	s_wait_xcnt 0x2
	v_xor_b32_e32 v25, 0x80000000, v25
	s_wait_loadcnt 0x0
	s_delay_alu instid0(VALU_DEP_1)
	v_fmac_f32_e32 v26, v25, v27
	s_clause 0x1
	global_store_b32 v3, v3, s[98:99]
	global_store_b32 v3, v26, s[96:97] offset:4
	s_cbranch_vccnz .LBB3_52
; %bb.51:                               ;   in Loop: Header=BB3_45 Depth=3
	s_add_nc_u64 s[26:27], s[60:61], s[90:91]
	global_store_b32 v3, v3, s[26:27]
.LBB3_52:                               ;   in Loop: Header=BB3_45 Depth=3
	s_wait_xcnt 0x0
	s_mov_b32 s26, 0
.LBB3_53:                               ;   in Loop: Header=BB3_45 Depth=3
	v_mov_b32_e32 v25, v15
	s_and_not1_b32 vcc_lo, exec_lo, s26
	s_cbranch_vccnz .LBB3_57
; %bb.54:                               ;   in Loop: Header=BB3_45 Depth=3
	s_clause 0x1
	global_store_b32 v3, v22, s[96:97]
	global_load_b32 v25, v3, s[94:95] offset:4
	v_div_scale_f32 v26, null, v22, v22, v24
	s_delay_alu instid0(VALU_DEP_1)
	v_rcp_f32_e32 v27, v26
	v_nop
	v_xor_b32_e32 v26, 0x80000000, v26
	s_delay_alu instid0(TRANS32_DEP_1) | instid1(VALU_DEP_1)
	v_fma_f32 v38, v26, v27, 1.0
	s_delay_alu instid0(VALU_DEP_1) | instskip(SKIP_1) | instid1(VALU_DEP_1)
	v_fmac_f32_e32 v27, v38, v27
	v_div_scale_f32 v38, vcc_lo, v24, v22, v24
	v_mul_f32_e32 v39, v38, v27
	s_delay_alu instid0(VALU_DEP_1) | instskip(NEXT) | instid1(VALU_DEP_1)
	v_fma_f32 v40, v26, v39, v38
	v_fmac_f32_e32 v39, v40, v27
	s_delay_alu instid0(VALU_DEP_1) | instskip(NEXT) | instid1(VALU_DEP_1)
	v_fmac_f32_e32 v38, v26, v39
	v_div_fmas_f32 v26, v38, v27, v39
	s_and_not1_b32 vcc_lo, exec_lo, vcc_hi
	s_wait_xcnt 0x1
	s_delay_alu instid0(VALU_DEP_1) | instskip(SKIP_2) | instid1(VALU_DEP_1)
	v_div_fixup_f32 v22, v26, v22, v24
	v_xor_b32_e32 v24, 0x80000000, v20
	s_wait_loadcnt 0x0
	v_fmac_f32_e32 v25, v24, v22
	s_clause 0x1
	global_store_b32 v3, v32, s[98:99]
	global_store_b32 v3, v25, s[96:97] offset:4
	s_cbranch_vccnz .LBB3_56
; %bb.55:                               ;   in Loop: Header=BB3_45 Depth=3
	global_load_b32 v24, v3, s[94:95] offset:8
	s_wait_xcnt 0x1
	v_xor_b32_e32 v25, 0x80000000, v22
	s_add_nc_u64 s[26:27], s[60:61], s[90:91]
	s_wait_loadcnt 0x0
	s_delay_alu instid0(VALU_DEP_1)
	v_mul_f32_e32 v25, v24, v25
	s_clause 0x1
	global_store_b32 v3, v24, s[26:27]
	global_store_b32 v3, v25, s[94:95] offset:8
.LBB3_56:                               ;   in Loop: Header=BB3_45 Depth=3
	s_wait_xcnt 0x0
	v_mov_b32_e32 v25, v2
	s_clause 0x1
	global_store_b32 v3, v20, s[94:95] offset:4
	global_store_b32 v3, v22, s[92:93]
.LBB3_57:                               ;   in Loop: Header=BB3_45 Depth=3
	s_delay_alu instid0(VALU_DEP_1)
	v_mov_b32_e32 v2, v25
	s_wait_xcnt 0x0
	s_cbranch_execz .LBB3_60
	s_branch .LBB3_63
.LBB3_58:                               ;   in Loop: Header=BB3_45 Depth=3
	v_mov_b32_e32 v21, 0
	v_cmp_neq_f32_e32 vcc_lo, 0, v22
	s_add_nc_u64 s[98:99], s[30:31], s[90:91]
	s_cbranch_vccnz .LBB3_49
.LBB3_59:                               ;   in Loop: Header=BB3_45 Depth=3
	s_wait_xcnt 0x1
                                        ; implicit-def: $vgpr23
                                        ; implicit-def: $vgpr2
.LBB3_60:                               ;   in Loop: Header=BB3_45 Depth=3
	s_and_not1_b32 vcc_lo, exec_lo, vcc_hi
	global_store_b32 v3, v3, s[98:99]
	s_cbranch_vccnz .LBB3_62
; %bb.61:                               ;   in Loop: Header=BB3_45 Depth=3
	s_add_nc_u64 s[26:27], s[60:61], s[90:91]
	global_store_b32 v3, v3, s[26:27]
.LBB3_62:                               ;   in Loop: Header=BB3_45 Depth=3
	v_dual_mov_b32 v23, 0 :: v_dual_mov_b32 v2, v15
.LBB3_63:                               ;   in Loop: Header=BB3_45 Depth=3
	s_delay_alu instid0(VALU_DEP_1) | instskip(NEXT) | instid1(VALU_DEP_1)
	v_dual_max_num_f32 v15, v23, v23 :: v_dual_max_num_f32 v20, v21, v21
	v_max_num_f32_e32 v15, v20, v15
	s_delay_alu instid0(VALU_DEP_1)
	v_cmp_nle_f32_e32 vcc_lo, v15, v30
	s_cbranch_vccnz .LBB3_44
; %bb.64:                               ;   in Loop: Header=BB3_45 Depth=3
	global_load_b32 v15, v3, s[84:85]
	s_wait_loadcnt 0x0
	v_cmp_ne_u32_e32 vcc_lo, 0, v15
	s_cbranch_vccnz .LBB3_44
; %bb.65:                               ;   in Loop: Header=BB3_45 Depth=3
	v_mov_b32_e32 v15, s36
	global_store_b32 v3, v15, s[84:85]
	s_branch .LBB3_44
.LBB3_66:                               ;   in Loop: Header=BB3_26 Depth=2
	global_load_b32 v15, v3, s[86:87]
	v_mul_f32_e32 v2, v30, v2
	s_wait_loadcnt 0x0
	v_and_b32_e32 v15, 0x7fffffff, v15
	s_delay_alu instid0(VALU_DEP_1)
	v_cmp_le_f32_e32 vcc_lo, v15, v2
	s_cbranch_vccz .LBB3_69
; %bb.67:                               ;   in Loop: Header=BB3_26 Depth=2
	global_load_b32 v2, v3, s[84:85]
	s_wait_loadcnt 0x0
	v_cmp_ne_u32_e32 vcc_lo, 0, v2
	s_cbranch_vccnz .LBB3_69
; %bb.68:                               ;   in Loop: Header=BB3_26 Depth=2
	global_store_b32 v3, v34, s[84:85]
.LBB3_69:                               ;   in Loop: Header=BB3_26 Depth=2
	s_wait_xcnt 0x0
	s_or_b32 exec_lo, exec_lo, s12
	s_sub_f32 s11, s89, s11
	s_mov_b32 s96, 0
	s_mov_b32 s98, 0
	s_delay_alu instid0(SALU_CYCLE_1) | instskip(NEXT) | instid1(SALU_CYCLE_1)
	s_bitset0_b32 s11, 31
	s_cmp_gt_f32 s11, s75
	s_cselect_b32 s97, -1, 0
	v_mov_b32_e32 v2, 0
	v_bfrev_b32_e32 v15, -2
	s_and_saveexec_b32 s12, s7
	s_cbranch_execz .LBB3_73
.LBB3_70:                               ;   in Loop: Header=BB3_26 Depth=2
	v_mov_b64_e32 v[20:21], v[8:9]
	v_dual_mov_b32 v2, 0 :: v_dual_mov_b32 v22, v0
	v_bfrev_b32_e32 v15, -2
	s_mov_b32 s36, 0
.LBB3_71:                               ;   Parent Loop BB3_17 Depth=1
                                        ;     Parent Loop BB3_26 Depth=2
                                        ; =>    This Inner Loop Header: Depth=3
	global_load_b32 v23, v[20:21], off
	v_cmp_eq_u32_e32 vcc_lo, 0x7fffffff, v15
	v_add_nc_u32_e32 v24, 1, v22
	s_wait_xcnt 0x0
	v_add_nc_u64_e32 v[20:21], 0x400, v[20:21]
	s_wait_loadcnt 0x0
	v_cmp_lt_f32_e64 s26, v2, |v23|
	s_or_b32 vcc_lo, s26, vcc_lo
	v_dual_cndmask_b32 v15, v15, v24 :: v_dual_add_nc_u32 v22, 0x100, v22
	v_cndmask_b32_e64 v2, v2, |v23|, vcc_lo
	s_delay_alu instid0(VALU_DEP_2) | instskip(SKIP_1) | instid1(SALU_CYCLE_1)
	v_cmp_ge_u32_e64 s11, v22, v34
	s_or_b32 s36, s11, s36
	s_and_not1_b32 exec_lo, exec_lo, s36
	s_cbranch_execnz .LBB3_71
; %bb.72:                               ;   in Loop: Header=BB3_26 Depth=2
	s_or_b32 exec_lo, exec_lo, s36
.LBB3_73:                               ;   Parent Loop BB3_17 Depth=1
                                        ;     Parent Loop BB3_26 Depth=2
                                        ; =>    This Loop Header: Depth=3
                                        ;         Child Loop BB3_111 Depth 4
                                        ;         Child Loop BB3_117 Depth 4
	;; [unrolled: 1-line block ×5, first 2 shown]
                                        ;           Child Loop BB3_137 Depth 5
                                        ;         Child Loop BB3_155 Depth 4
                                        ;           Child Loop BB3_156 Depth 5
                                        ;           Child Loop BB3_158 Depth 5
                                        ;         Child Loop BB3_163 Depth 4
	s_delay_alu instid0(SALU_CYCLE_1)
	s_or_b32 exec_lo, exec_lo, s12
	ds_store_2addr_stride64_b32 v28, v2, v15 offset1:8
	s_wait_storecnt_dscnt 0x0
	s_barrier_signal -1
	s_barrier_wait -1
	s_and_saveexec_b32 s12, s0
	s_cbranch_execz .LBB3_79
; %bb.74:                               ;   in Loop: Header=BB3_73 Depth=3
	ds_load_2addr_stride64_b32 v[20:21], v28 offset0:2 offset1:10
	s_mov_b32 s90, exec_lo
	s_wait_dscnt 0x0
	v_cmp_lt_f32_e64 s36, v2, v20
	v_cmpx_nlt_f32_e32 v2, v20
; %bb.75:                               ;   in Loop: Header=BB3_73 Depth=3
	v_cmp_eq_f32_e32 vcc_lo, v2, v20
	v_cmp_gt_i32_e64 s11, v15, v21
	s_and_not1_b32 s26, s36, exec_lo
	s_and_b32 s11, vcc_lo, s11
	s_delay_alu instid0(SALU_CYCLE_1) | instskip(NEXT) | instid1(SALU_CYCLE_1)
	s_and_b32 s11, s11, exec_lo
	s_or_b32 s36, s26, s11
; %bb.76:                               ;   in Loop: Header=BB3_73 Depth=3
	s_or_b32 exec_lo, exec_lo, s90
	s_and_saveexec_b32 s11, s36
; %bb.77:                               ;   in Loop: Header=BB3_73 Depth=3
	v_dual_mov_b32 v15, v21 :: v_dual_mov_b32 v2, v20
	ds_store_2addr_stride64_b32 v28, v20, v21 offset1:8
; %bb.78:                               ;   in Loop: Header=BB3_73 Depth=3
	s_or_b32 exec_lo, exec_lo, s11
.LBB3_79:                               ;   in Loop: Header=BB3_73 Depth=3
	s_delay_alu instid0(SALU_CYCLE_1)
	s_or_b32 exec_lo, exec_lo, s12
	s_wait_dscnt 0x0
	s_barrier_signal -1
	s_barrier_wait -1
	s_and_saveexec_b32 s12, s1
	s_cbranch_execz .LBB3_85
; %bb.80:                               ;   in Loop: Header=BB3_73 Depth=3
	ds_load_2addr_stride64_b32 v[20:21], v28 offset0:1 offset1:9
	s_mov_b32 s90, exec_lo
	s_wait_dscnt 0x0
	v_cmp_lt_f32_e64 s36, v2, v20
	v_cmpx_nlt_f32_e32 v2, v20
; %bb.81:                               ;   in Loop: Header=BB3_73 Depth=3
	v_cmp_eq_f32_e32 vcc_lo, v2, v20
	v_cmp_gt_i32_e64 s11, v15, v21
	s_and_not1_b32 s26, s36, exec_lo
	s_and_b32 s11, vcc_lo, s11
	s_delay_alu instid0(SALU_CYCLE_1) | instskip(NEXT) | instid1(SALU_CYCLE_1)
	s_and_b32 s11, s11, exec_lo
	s_or_b32 s36, s26, s11
; %bb.82:                               ;   in Loop: Header=BB3_73 Depth=3
	s_or_b32 exec_lo, exec_lo, s90
	s_and_saveexec_b32 s11, s36
; %bb.83:                               ;   in Loop: Header=BB3_73 Depth=3
	v_dual_mov_b32 v15, v21 :: v_dual_mov_b32 v2, v20
	ds_store_2addr_stride64_b32 v28, v20, v21 offset1:8
; %bb.84:                               ;   in Loop: Header=BB3_73 Depth=3
	s_or_b32 exec_lo, exec_lo, s11
.LBB3_85:                               ;   in Loop: Header=BB3_73 Depth=3
	s_delay_alu instid0(SALU_CYCLE_1)
	s_or_b32 exec_lo, exec_lo, s12
	s_wait_dscnt 0x0
	s_barrier_signal -1
	s_barrier_wait -1
	s_and_saveexec_b32 s36, s3
	s_cbranch_execz .LBB3_108
; %bb.86:                               ;   in Loop: Header=BB3_73 Depth=3
	v_add_nc_u32_e32 v20, 0x80, v28
	s_mov_b32 s90, exec_lo
	ds_load_2addr_stride64_b32 v[20:21], v20 offset1:8
	s_wait_dscnt 0x0
	v_cmp_lt_f32_e64 s12, v2, v20
	v_cmpx_nlt_f32_e32 v2, v20
; %bb.87:                               ;   in Loop: Header=BB3_73 Depth=3
	v_cmp_eq_f32_e32 vcc_lo, v2, v20
	v_cmp_gt_i32_e64 s11, v15, v21
	s_and_not1_b32 s12, s12, exec_lo
	s_and_b32 s11, vcc_lo, s11
	s_delay_alu instid0(SALU_CYCLE_1) | instskip(NEXT) | instid1(SALU_CYCLE_1)
	s_and_b32 s11, s11, exec_lo
	s_or_b32 s12, s12, s11
; %bb.88:                               ;   in Loop: Header=BB3_73 Depth=3
	s_or_b32 exec_lo, exec_lo, s90
	s_and_saveexec_b32 s11, s12
; %bb.89:                               ;   in Loop: Header=BB3_73 Depth=3
	v_dual_mov_b32 v2, v20 :: v_dual_mov_b32 v15, v21
	ds_store_2addr_stride64_b32 v28, v20, v21 offset1:8
; %bb.90:                               ;   in Loop: Header=BB3_73 Depth=3
	s_or_b32 exec_lo, exec_lo, s11
	v_add_nc_u32_e32 v20, 64, v28
	s_mov_b32 s90, exec_lo
	ds_load_2addr_stride64_b32 v[20:21], v20 offset1:8
	s_wait_dscnt 0x0
	v_cmp_lt_f32_e64 s12, v2, v20
	v_cmpx_nlt_f32_e32 v2, v20
; %bb.91:                               ;   in Loop: Header=BB3_73 Depth=3
	v_cmp_eq_f32_e32 vcc_lo, v2, v20
	v_cmp_gt_i32_e64 s11, v15, v21
	s_and_not1_b32 s12, s12, exec_lo
	s_and_b32 s11, vcc_lo, s11
	s_delay_alu instid0(SALU_CYCLE_1) | instskip(NEXT) | instid1(SALU_CYCLE_1)
	s_and_b32 s11, s11, exec_lo
	s_or_b32 s12, s12, s11
; %bb.92:                               ;   in Loop: Header=BB3_73 Depth=3
	s_or_b32 exec_lo, exec_lo, s90
	s_and_saveexec_b32 s11, s12
; %bb.93:                               ;   in Loop: Header=BB3_73 Depth=3
	v_dual_mov_b32 v2, v20 :: v_dual_mov_b32 v15, v21
	ds_store_2addr_stride64_b32 v28, v20, v21 offset1:8
; %bb.94:                               ;   in Loop: Header=BB3_73 Depth=3
	s_or_b32 exec_lo, exec_lo, s11
	;; [unrolled: 22-line block ×3, first 2 shown]
	v_add_nc_u32_e32 v20, 16, v28
	s_mov_b32 s90, exec_lo
	ds_load_2addr_stride64_b32 v[20:21], v20 offset1:8
	s_wait_dscnt 0x0
	v_cmp_lt_f32_e64 s12, v2, v20
	v_cmpx_nlt_f32_e32 v2, v20
; %bb.99:                               ;   in Loop: Header=BB3_73 Depth=3
	v_cmp_eq_f32_e32 vcc_lo, v2, v20
	v_cmp_gt_i32_e64 s11, v15, v21
	s_and_not1_b32 s12, s12, exec_lo
	s_and_b32 s11, vcc_lo, s11
	s_delay_alu instid0(SALU_CYCLE_1) | instskip(NEXT) | instid1(SALU_CYCLE_1)
	s_and_b32 s11, s11, exec_lo
	s_or_b32 s12, s12, s11
; %bb.100:                              ;   in Loop: Header=BB3_73 Depth=3
	s_or_b32 exec_lo, exec_lo, s90
	s_and_saveexec_b32 s11, s12
; %bb.101:                              ;   in Loop: Header=BB3_73 Depth=3
	v_dual_mov_b32 v2, v20 :: v_dual_mov_b32 v15, v21
	ds_store_2addr_stride64_b32 v28, v20, v21 offset1:8
; %bb.102:                              ;   in Loop: Header=BB3_73 Depth=3
	s_or_b32 exec_lo, exec_lo, s11
	v_add_nc_u32_e32 v20, 8, v28
	s_mov_b32 s90, exec_lo
	ds_load_2addr_stride64_b32 v[20:21], v20 offset1:8
	s_wait_dscnt 0x0
	v_cmp_lt_f32_e64 s12, v2, v20
	v_cmpx_nlt_f32_e32 v2, v20
; %bb.103:                              ;   in Loop: Header=BB3_73 Depth=3
	v_cmp_eq_f32_e32 vcc_lo, v2, v20
	v_cmp_gt_i32_e64 s11, v15, v21
	s_and_not1_b32 s12, s12, exec_lo
	s_and_b32 s11, vcc_lo, s11
	s_delay_alu instid0(SALU_CYCLE_1) | instskip(NEXT) | instid1(SALU_CYCLE_1)
	s_and_b32 s11, s11, exec_lo
	s_or_b32 s12, s12, s11
; %bb.104:                              ;   in Loop: Header=BB3_73 Depth=3
	s_or_b32 exec_lo, exec_lo, s90
	s_and_saveexec_b32 s11, s12
; %bb.105:                              ;   in Loop: Header=BB3_73 Depth=3
	v_dual_mov_b32 v2, v20 :: v_dual_mov_b32 v15, v21
	ds_store_2addr_stride64_b32 v28, v20, v21 offset1:8
; %bb.106:                              ;   in Loop: Header=BB3_73 Depth=3
	s_or_b32 exec_lo, exec_lo, s11
	v_add_nc_u32_e32 v20, 4, v28
	ds_load_2addr_stride64_b32 v[20:21], v20 offset1:8
	s_wait_dscnt 0x0
	v_cmp_eq_f32_e32 vcc_lo, v2, v20
	v_cmp_gt_i32_e64 s11, v15, v21
	v_cmp_lt_f32_e64 s12, v2, v20
	s_and_b32 s11, vcc_lo, s11
	s_delay_alu instid0(SALU_CYCLE_1) | instskip(NEXT) | instid1(SALU_CYCLE_1)
	s_or_b32 s11, s12, s11
	s_and_b32 exec_lo, exec_lo, s11
; %bb.107:                              ;   in Loop: Header=BB3_73 Depth=3
	ds_store_2addr_stride64_b32 v28, v20, v21 offset1:8
.LBB3_108:                              ;   in Loop: Header=BB3_73 Depth=3
	s_or_b32 exec_lo, exec_lo, s36
	s_wait_dscnt 0x0
	s_barrier_signal -1
	s_barrier_wait -1
	s_and_saveexec_b32 s11, s5
	s_cbranch_execz .LBB3_118
; %bb.109:                              ;   in Loop: Header=BB3_73 Depth=3
	global_load_b32 v2, v3, s[82:83]
	ds_load_b32 v15, v33
	s_mov_b32 s36, -1
	s_wait_loadcnt 0x0
	v_and_b32_e32 v2, 0x7fffffff, v2
	s_delay_alu instid0(VALU_DEP_1) | instskip(SKIP_1) | instid1(VALU_DEP_1)
	v_cmp_lt_f32_e32 vcc_lo, s22, v2
	v_cndmask_b32_e32 v2, s22, v2, vcc_lo
	v_mul_f32_e32 v20, v37, v2
	s_wait_dscnt 0x0
	s_delay_alu instid0(VALU_DEP_1) | instskip(SKIP_1) | instid1(VALU_DEP_2)
	v_div_scale_f32 v2, null, v15, v15, v20
	v_div_scale_f32 v23, vcc_lo, v20, v15, v20
	v_rcp_f32_e32 v21, v2
	v_nop
	v_xor_b32_e32 v2, 0x80000000, v2
	s_delay_alu instid0(TRANS32_DEP_1) | instid1(VALU_DEP_1)
	v_fma_f32 v22, v2, v21, 1.0
	s_delay_alu instid0(VALU_DEP_1) | instskip(NEXT) | instid1(VALU_DEP_1)
	v_fmac_f32_e32 v21, v22, v21
	v_mul_f32_e32 v22, v23, v21
	s_delay_alu instid0(VALU_DEP_1) | instskip(NEXT) | instid1(VALU_DEP_1)
	v_fma_f32 v24, v2, v22, v23
	v_fmac_f32_e32 v22, v24, v21
	s_delay_alu instid0(VALU_DEP_1) | instskip(NEXT) | instid1(VALU_DEP_1)
	v_dual_fmac_f32 v23, v2, v22 :: v_dual_mov_b32 v2, v0
	v_div_fmas_f32 v21, v23, v21, v22
	v_mov_b64_e32 v[22:23], v[6:7]
	s_delay_alu instid0(VALU_DEP_2)
	v_div_fixup_f32 v20, v21, v15, v20
	s_and_saveexec_b32 s12, s9
	s_cbranch_execz .LBB3_115
; %bb.110:                              ;   in Loop: Header=BB3_73 Depth=3
	v_mov_b64_e32 v[22:23], v[0:1]
	s_delay_alu instid0(VALU_DEP_2)
	v_dual_mov_b32 v21, v20 :: v_dual_mov_b32 v15, v36
	s_mov_b32 s36, 0
.LBB3_111:                              ;   Parent Loop BB3_17 Depth=1
                                        ;     Parent Loop BB3_26 Depth=2
                                        ;       Parent Loop BB3_73 Depth=3
                                        ; =>      This Inner Loop Header: Depth=4
	s_delay_alu instid0(VALU_DEP_1) | instskip(SKIP_1) | instid1(VALU_DEP_2)
	v_dual_mov_b32 v2, v22 :: v_dual_add_nc_u32 v15, -2, v15
	v_add_nc_u32_e32 v22, 0x200, v22
	v_lshl_add_u64 v[24:25], v[2:3], 2, s[48:49]
	v_dual_mov_b32 v2, v23 :: v_dual_add_nc_u32 v23, 0x200, v23
	s_delay_alu instid0(VALU_DEP_4) | instskip(NEXT) | instid1(VALU_DEP_2)
	v_cmp_eq_u32_e32 vcc_lo, 0, v15
	v_lshl_add_u64 v[26:27], v[2:3], 2, s[48:49]
	s_clause 0x1
	global_load_b32 v38, v[24:25], off
	global_load_b32 v39, v[26:27], off
	s_or_b32 s36, vcc_lo, s36
	s_wait_loadcnt 0x0
	v_pk_mul_f32 v[38:39], v[20:21], v[38:39]
	s_clause 0x1
	global_store_b32 v[24:25], v38, off
	global_store_b32 v[26:27], v39, off
	s_wait_xcnt 0x0
	s_and_not1_b32 exec_lo, exec_lo, s36
	s_cbranch_execnz .LBB3_111
; %bb.112:                              ;   in Loop: Header=BB3_73 Depth=3
	s_or_b32 exec_lo, exec_lo, s36
	s_mov_b32 s36, 0
                                        ; implicit-def: $vgpr22_vgpr23
	s_and_saveexec_b32 s90, s10
; %bb.113:                              ;   in Loop: Header=BB3_73 Depth=3
	v_mov_b32_e32 v15, v3
	s_mov_b32 s36, exec_lo
	s_delay_alu instid0(VALU_DEP_1)
	v_lshlrev_b64_e32 v[22:23], 2, v[14:15]
; %bb.114:                              ;   in Loop: Header=BB3_73 Depth=3
	s_or_b32 exec_lo, exec_lo, s90
	v_mov_b32_e32 v2, v14
	s_or_not1_b32 s36, s36, exec_lo
.LBB3_115:                              ;   in Loop: Header=BB3_73 Depth=3
	s_or_b32 exec_lo, exec_lo, s12
	s_delay_alu instid0(SALU_CYCLE_1)
	s_and_b32 exec_lo, exec_lo, s36
	s_cbranch_execz .LBB3_118
; %bb.116:                              ;   in Loop: Header=BB3_73 Depth=3
	v_add_nc_u64_e32 v[22:23], s[48:49], v[22:23]
	s_mov_b32 s12, 0
.LBB3_117:                              ;   Parent Loop BB3_17 Depth=1
                                        ;     Parent Loop BB3_26 Depth=2
                                        ;       Parent Loop BB3_73 Depth=3
                                        ; =>      This Inner Loop Header: Depth=4
	global_load_b32 v15, v[22:23], off
	s_wait_loadcnt 0x0
	v_dual_mul_f32 v15, v20, v15 :: v_dual_add_nc_u32 v2, 0x100, v2
	s_delay_alu instid0(VALU_DEP_1) | instskip(SKIP_4) | instid1(SALU_CYCLE_1)
	v_cmp_lt_i32_e32 vcc_lo, s78, v2
	global_store_b32 v[22:23], v15, off
	s_wait_xcnt 0x0
	v_add_nc_u64_e32 v[22:23], 0x400, v[22:23]
	s_or_b32 s12, vcc_lo, s12
	s_and_not1_b32 exec_lo, exec_lo, s12
	s_cbranch_execnz .LBB3_117
.LBB3_118:                              ;   in Loop: Header=BB3_73 Depth=3
	s_or_b32 exec_lo, exec_lo, s11
	s_wait_storecnt 0x0
	s_barrier_signal -1
	s_barrier_wait -1
	s_and_saveexec_b32 s12, s2
	s_cbranch_execz .LBB3_151
; %bb.119:                              ;   in Loop: Header=BB3_73 Depth=3
	s_clause 0x1
	global_load_b64 v[20:21], v3, s[52:53]
	global_load_b32 v2, v3, s[56:57] offset:4
	s_and_not1_b32 vcc_lo, exec_lo, s8
	s_mov_b64 s[90:91], s[60:61]
	s_mov_b64 s[92:93], s[28:29]
	s_mov_b32 s36, s77
	s_wait_loadcnt 0x0
	v_max3_num_f32 v2, |v20|, |v21|, |v2|
	s_delay_alu instid0(VALU_DEP_1)
	v_readfirstlane_b32 s11, v2
	s_cbranch_vccnz .LBB3_121
.LBB3_120:                              ;   Parent Loop BB3_17 Depth=1
                                        ;     Parent Loop BB3_26 Depth=2
                                        ;       Parent Loop BB3_73 Depth=3
                                        ; =>      This Inner Loop Header: Depth=4
	s_add_nc_u64 s[26:27], s[92:93], s[50:51]
	s_clause 0x2
	global_load_b32 v2, v3, s[92:93]
	global_load_b32 v15, v3, s[90:91]
	;; [unrolled: 1-line block ×3, first 2 shown]
	s_add_co_i32 s36, s36, -1
	s_wait_xcnt 0x2
	s_add_nc_u64 s[92:93], s[92:93], 4
	s_cmp_lg_u32 s36, 0
	s_wait_xcnt 0x1
	s_add_nc_u64 s[90:91], s[90:91], 4
	s_wait_loadcnt 0x1
	v_max_num_f32_e64 v15, |v15|, |v15|
	s_wait_loadcnt 0x0
	v_max_num_f32_e64 v20, |v20|, |v20|
	s_delay_alu instid0(VALU_DEP_1) | instskip(NEXT) | instid1(VALU_DEP_1)
	v_max_num_f32_e32 v15, v20, v15
	v_max3_num_f32 v2, s11, |v2|, v15
	s_delay_alu instid0(VALU_DEP_1)
	v_readfirstlane_b32 s11, v2
	s_cbranch_scc1 .LBB3_120
.LBB3_121:                              ;   in Loop: Header=BB3_73 Depth=3
	s_mov_b32 s36, s78
	s_mov_b64 s[90:91], s[30:31]
	s_mov_b64 s[92:93], s[58:59]
	;; [unrolled: 1-line block ×3, first 2 shown]
	s_branch .LBB3_123
.LBB3_122:                              ;   in Loop: Header=BB3_123 Depth=4
	s_add_co_i32 s36, s36, -1
	s_wait_xcnt 0x0
	s_add_nc_u64 s[94:95], s[94:95], 4
	s_add_nc_u64 s[92:93], s[92:93], 4
	s_cmp_lg_u32 s36, 0
	s_add_nc_u64 s[90:91], s[90:91], 4
	s_cbranch_scc0 .LBB3_127
.LBB3_123:                              ;   Parent Loop BB3_17 Depth=1
                                        ;     Parent Loop BB3_26 Depth=2
                                        ;       Parent Loop BB3_73 Depth=3
                                        ; =>      This Inner Loop Header: Depth=4
	global_load_b32 v2, v3, s[90:91]
	s_wait_loadcnt 0x0
	v_cmp_ne_u32_e32 vcc_lo, 0, v2
	s_cbranch_vccz .LBB3_125
; %bb.124:                              ;   in Loop: Header=BB3_123 Depth=4
	global_load_b64 v[20:21], v3, s[94:95] offset:-4
	s_wait_loadcnt 0x0
	s_clause 0x1
	global_store_b32 v3, v21, s[94:95] offset:-4
	global_load_b32 v2, v3, s[92:93]
	v_xor_b32_e32 v15, 0x80000000, v21
	s_wait_loadcnt 0x0
	s_delay_alu instid0(VALU_DEP_1)
	v_fmac_f32_e32 v20, v15, v2
	global_store_b32 v3, v20, s[94:95]
	s_cbranch_execnz .LBB3_122
	s_branch .LBB3_126
.LBB3_125:                              ;   in Loop: Header=BB3_123 Depth=4
.LBB3_126:                              ;   in Loop: Header=BB3_123 Depth=4
	s_clause 0x1
	global_load_b32 v2, v3, s[92:93]
	global_load_b64 v[20:21], v3, s[94:95] offset:-4
	s_wait_loadcnt 0x1
	v_xor_b32_e32 v2, 0x80000000, v2
	s_wait_loadcnt 0x0
	s_delay_alu instid0(VALU_DEP_1)
	v_fmac_f32_e32 v21, v2, v20
	global_store_b32 v3, v21, s[94:95]
	s_branch .LBB3_122
.LBB3_127:                              ;   in Loop: Header=BB3_73 Depth=3
	s_mul_f32 s11, s22, s11
	s_mov_b32 s36, s78
	s_delay_alu instid0(SALU_CYCLE_2) | instskip(SKIP_1) | instid1(SALU_CYCLE_1)
	s_cmp_eq_f32 s11, 0
	s_cselect_b32 s94, s22, s11
	s_bitset0_b32 s94, 31
	s_delay_alu instid0(SALU_CYCLE_1)
	s_xor_b32 s95, s94, 0x80000000
	s_branch .LBB3_130
.LBB3_128:                              ;   in Loop: Header=BB3_130 Depth=4
	s_delay_alu instid0(VALU_DEP_1)
	v_mov_b32_e32 v20, v22
.LBB3_129:                              ;   in Loop: Header=BB3_130 Depth=4
	s_wait_xcnt 0x1
	s_delay_alu instid0(VALU_DEP_1)
	v_div_scale_f32 v2, null, v23, v23, v20
	s_add_co_i32 s11, s36, -1
	s_cmp_gt_i32 s36, 0
	s_mov_b32 s36, s11
	v_rcp_f32_e32 v15, v2
	v_nop
	v_xor_b32_e32 v2, 0x80000000, v2
	s_delay_alu instid0(TRANS32_DEP_1) | instid1(VALU_DEP_1)
	v_fma_f32 v21, v2, v15, 1.0
	s_delay_alu instid0(VALU_DEP_1) | instskip(SKIP_1) | instid1(VALU_DEP_1)
	v_fmac_f32_e32 v15, v21, v15
	v_div_scale_f32 v21, vcc_lo, v20, v23, v20
	v_mul_f32_e32 v22, v21, v15
	s_delay_alu instid0(VALU_DEP_1) | instskip(NEXT) | instid1(VALU_DEP_1)
	v_fma_f32 v24, v2, v22, v21
	v_fmac_f32_e32 v22, v24, v15
	s_delay_alu instid0(VALU_DEP_1) | instskip(NEXT) | instid1(VALU_DEP_1)
	v_fmac_f32_e32 v21, v2, v22
	v_div_fmas_f32 v2, v21, v15, v22
	s_delay_alu instid0(VALU_DEP_1)
	v_div_fixup_f32 v2, v2, v23, v20
	global_store_b32 v3, v2, s[90:91]
	s_cbranch_scc0 .LBB3_151
.LBB3_130:                              ;   Parent Loop BB3_17 Depth=1
                                        ;     Parent Loop BB3_26 Depth=2
                                        ;       Parent Loop BB3_73 Depth=3
                                        ; =>      This Loop Header: Depth=4
                                        ;           Child Loop BB3_137 Depth 5
	s_wait_xcnt 0x0
	v_mov_b32_e32 v2, s36
	s_lshl_b64 s[92:93], s[36:37], 2
	s_cmp_ge_i32 s36, s78
	s_add_nc_u64 s[90:91], s[48:49], s[92:93]
	global_load_b32 v20, v2, s[48:49] scale_offset
	s_cbranch_scc1 .LBB3_132
; %bb.131:                              ;   in Loop: Header=BB3_130 Depth=4
	s_add_nc_u64 s[26:27], s[56:57], s[92:93]
	s_clause 0x1
	global_load_b32 v2, v3, s[26:27] offset:4
	global_load_b32 v15, v3, s[90:91] offset:4
	s_wait_loadcnt 0x1
	v_xor_b32_e32 v2, 0x80000000, v2
	s_wait_loadcnt 0x0
	s_delay_alu instid0(VALU_DEP_1)
	v_fmac_f32_e32 v20, v2, v15
.LBB3_132:                              ;   in Loop: Header=BB3_130 Depth=4
	s_cmp_ge_i32 s36, s77
	s_cbranch_scc1 .LBB3_134
; %bb.133:                              ;   in Loop: Header=BB3_130 Depth=4
	s_wait_xcnt 0x1
	s_add_nc_u64 s[26:27], s[60:61], s[92:93]
	s_clause 0x1
	global_load_b32 v2, v3, s[26:27]
	global_load_b32 v15, v3, s[90:91] offset:8
	s_wait_loadcnt 0x1
	v_xor_b32_e32 v2, 0x80000000, v2
	s_wait_loadcnt 0x0
	s_delay_alu instid0(VALU_DEP_1)
	v_fmac_f32_e32 v20, v2, v15
.LBB3_134:                              ;   in Loop: Header=BB3_130 Depth=4
	s_wait_xcnt 0x1
	s_add_nc_u64 s[26:27], s[52:53], s[92:93]
	global_load_b32 v23, v3, s[26:27]
	s_wait_loadcnt 0x0
	v_and_b32_e32 v24, 0x7fffffff, v23
	s_delay_alu instid0(VALU_DEP_1)
	v_cmp_ngt_f32_e32 vcc_lo, 1.0, v24
	s_cbranch_vccnz .LBB3_129
; %bb.135:                              ;   in Loop: Header=BB3_130 Depth=4
	v_mov_b32_e32 v15, s95
	s_wait_xcnt 0x1
	v_and_b32_e32 v2, 0x7fffffff, v20
	v_cmp_nle_f32_e32 vcc_lo, 0, v23
	s_delay_alu instid0(VALU_DEP_3) | instskip(NEXT) | instid1(VALU_DEP_3)
	v_cndmask_b32_e32 v22, s94, v15, vcc_lo
	v_mul_f32_e32 v15, s23, v2
	s_branch .LBB3_137
.LBB3_136:                              ;   in Loop: Header=BB3_137 Depth=5
	v_dual_add_f32 v23, v21, v22 :: v_dual_add_f32 v22, v22, v22
	s_mov_b32 s11, 0
	s_mov_b32 s92, 0
	s_delay_alu instid0(VALU_DEP_1) | instskip(NEXT) | instid1(VALU_DEP_1)
	v_and_b32_e32 v24, 0x7fffffff, v23
	v_cmp_ngt_f32_e64 s93, 1.0, v24
	s_and_not1_b32 vcc_lo, exec_lo, s93
	s_cbranch_vccz .LBB3_143
.LBB3_137:                              ;   Parent Loop BB3_17 Depth=1
                                        ;     Parent Loop BB3_26 Depth=2
                                        ;       Parent Loop BB3_73 Depth=3
                                        ;         Parent Loop BB3_130 Depth=4
                                        ; =>        This Inner Loop Header: Depth=5
	v_cmp_ngt_f32_e32 vcc_lo, s23, v24
	v_mov_b32_e32 v21, v23
	s_mov_b32 s92, -1
	s_mov_b32 s11, 0
	s_mov_b32 s93, 0
	s_wait_xcnt 0x0
	s_mov_b32 s26, -1
	s_cbranch_vccnz .LBB3_140
; %bb.138:                              ;   in Loop: Header=BB3_137 Depth=5
	s_and_not1_b32 vcc_lo, exec_lo, s26
	s_cbranch_vccz .LBB3_141
.LBB3_139:                              ;   in Loop: Header=BB3_137 Depth=5
	s_and_not1_b32 vcc_lo, exec_lo, s93
	s_cbranch_vccz .LBB3_136
	s_branch .LBB3_142
.LBB3_140:                              ;   in Loop: Header=BB3_137 Depth=5
	v_mul_f32_e32 v23, v4, v24
	s_delay_alu instid0(VALU_DEP_1)
	v_cmp_gt_f32_e64 s93, v2, v23
	s_cbranch_execnz .LBB3_139
.LBB3_141:                              ;   in Loop: Header=BB3_137 Depth=5
	v_cmp_eq_f32_e32 vcc_lo, 0, v21
	v_cmp_gt_f32_e64 s11, v15, v24
	s_mov_b32 s92, 0
	s_or_b32 s93, vcc_lo, s11
	s_mov_b32 s11, -1
	s_and_not1_b32 vcc_lo, exec_lo, s93
	s_cbranch_vccz .LBB3_136
.LBB3_142:                              ;   in Loop: Header=BB3_130 Depth=4
                                        ; implicit-def: $vgpr22
                                        ; implicit-def: $vgpr23
                                        ; implicit-def: $vgpr24
.LBB3_143:                              ;   in Loop: Header=BB3_130 Depth=4
	s_and_b32 vcc_lo, exec_lo, s92
	s_mov_b32 s92, -1
	s_cbranch_vccnz .LBB3_149
; %bb.144:                              ;   in Loop: Header=BB3_130 Depth=4
	s_xor_b32 s11, s11, -1
	s_delay_alu instid0(SALU_CYCLE_1)
	s_and_b32 vcc_lo, exec_lo, s11
	s_mov_b32 s11, -1
	s_cbranch_vccz .LBB3_146
; %bb.145:                              ;   in Loop: Header=BB3_130 Depth=4
	s_mov_b32 s11, 0
.LBB3_146:                              ;   in Loop: Header=BB3_130 Depth=4
	v_mov_b32_e32 v22, v20
	s_and_not1_b32 vcc_lo, exec_lo, s11
	s_cbranch_vccnz .LBB3_148
; %bb.147:                              ;   in Loop: Header=BB3_130 Depth=4
	v_pk_mul_f32 v[22:23], v[4:5], v[20:21]
.LBB3_148:                              ;   in Loop: Header=BB3_130 Depth=4
	s_cbranch_execnz .LBB3_128
	s_branch .LBB3_150
.LBB3_149:                              ;   in Loop: Header=BB3_130 Depth=4
                                        ; implicit-def: $vgpr23
	s_and_not1_b32 vcc_lo, exec_lo, s92
	s_cbranch_vccnz .LBB3_128
.LBB3_150:                              ;   in Loop: Header=BB3_130 Depth=4
	v_dual_mov_b32 v23, v21 :: v_dual_mov_b32 v22, v20
	s_branch .LBB3_128
.LBB3_151:                              ;   in Loop: Header=BB3_73 Depth=3
	s_wait_xcnt 0x0
	s_or_b32 exec_lo, exec_lo, s12
	s_delay_alu instid0(SALU_CYCLE_1)
	s_and_not1_b32 vcc_lo, exec_lo, s104
	s_wait_storecnt 0x0
	s_barrier_signal -1
	s_barrier_wait -1
	s_cbranch_vccnz .LBB3_161
; %bb.152:                              ;   in Loop: Header=BB3_73 Depth=3
	s_and_b32 s11, s97, exec_lo
	s_cselect_b32 s11, s88, s100
	s_mov_b32 s100, s88
	s_cmp_eq_u32 s11, s88
	s_cbranch_scc1 .LBB3_161
; %bb.153:                              ;   in Loop: Header=BB3_73 Depth=3
	s_cmp_lt_i32 s11, s88
	s_cselect_b32 s12, -1, 0
	s_delay_alu instid0(SALU_CYCLE_1) | instskip(NEXT) | instid1(SALU_CYCLE_1)
	s_and_b32 s26, s2, s12
	s_and_saveexec_b32 s12, s26
	s_cbranch_execz .LBB3_160
; %bb.154:                              ;   in Loop: Header=BB3_73 Depth=3
	s_mul_i32 s26, s13, s11
	s_mov_b32 s94, s11
	s_add_co_i32 s36, s74, s26
.LBB3_155:                              ;   Parent Loop BB3_17 Depth=1
                                        ;     Parent Loop BB3_26 Depth=2
                                        ;       Parent Loop BB3_73 Depth=3
                                        ; =>      This Loop Header: Depth=4
                                        ;           Child Loop BB3_156 Depth 5
                                        ;           Child Loop BB3_158 Depth 5
	v_dual_mov_b32 v2, 0 :: v_dual_mov_b32 v15, v34
	s_mov_b64 s[90:91], s[48:49]
	s_mov_b32 s92, s36
.LBB3_156:                              ;   Parent Loop BB3_17 Depth=1
                                        ;     Parent Loop BB3_26 Depth=2
                                        ;       Parent Loop BB3_73 Depth=3
                                        ;         Parent Loop BB3_155 Depth=4
                                        ; =>        This Inner Loop Header: Depth=5
	s_delay_alu instid0(SALU_CYCLE_1)
	s_ashr_i32 s93, s92, 31
	s_wait_xcnt 0x0
	s_lshl_b64 s[26:27], s[92:93], 3
	s_add_co_i32 s92, s92, 1
	s_add_nc_u64 s[26:27], s[54:55], s[26:27]
	s_clause 0x1
	global_load_b32 v20, v3, s[90:91]
	global_load_b32 v21, v3, s[26:27]
	v_add_nc_u32_e32 v15, -1, v15
	s_wait_xcnt 0x1
	s_add_nc_u64 s[90:91], s[90:91], 4
	s_wait_loadcnt 0x0
	v_fmac_f32_e32 v2, v20, v21
	v_cmp_ne_u32_e32 vcc_lo, 0, v15
	s_cbranch_vccnz .LBB3_156
; %bb.157:                              ;   in Loop: Header=BB3_155 Depth=4
	s_mov_b32 s92, 0
	s_mov_b64 s[90:91], s[48:49]
.LBB3_158:                              ;   Parent Loop BB3_17 Depth=1
                                        ;     Parent Loop BB3_26 Depth=2
                                        ;       Parent Loop BB3_73 Depth=3
                                        ;         Parent Loop BB3_155 Depth=4
                                        ; =>        This Inner Loop Header: Depth=5
	s_wait_xcnt 0x0
	s_add_co_i32 s26, s36, s92
	global_load_b32 v15, v3, s[90:91]
	s_ashr_i32 s27, s26, 31
	v_xor_b32_e32 v21, 0x80000000, v2
	s_lshl_b64 s[26:27], s[26:27], 3
	s_add_co_i32 s92, s92, 1
	s_add_nc_u64 s[26:27], s[54:55], s[26:27]
	v_cmp_ne_u32_e32 vcc_lo, s92, v34
	global_load_b32 v20, v3, s[26:27]
	s_and_b32 vcc_lo, exec_lo, vcc_lo
	s_wait_loadcnt 0x0
	v_fmac_f32_e32 v15, v21, v20
	global_store_b32 v3, v15, s[90:91]
	s_wait_xcnt 0x0
	s_add_nc_u64 s[90:91], s[90:91], 4
	s_cbranch_vccnz .LBB3_158
; %bb.159:                              ;   in Loop: Header=BB3_155 Depth=4
	s_add_co_i32 s94, s94, 1
	s_add_co_i32 s36, s36, s13
	s_cmp_lt_i32 s94, s88
	s_cbranch_scc1 .LBB3_155
.LBB3_160:                              ;   in Loop: Header=BB3_73 Depth=3
	s_or_b32 exec_lo, exec_lo, s12
	s_mov_b32 s100, s11
	s_wait_storecnt 0x0
	s_barrier_signal -1
	s_barrier_wait -1
.LBB3_161:                              ;   in Loop: Header=BB3_73 Depth=3
	v_mov_b32_e32 v2, 0
	v_bfrev_b32_e32 v15, -2
	s_and_saveexec_b32 s12, s7
	s_cbranch_execz .LBB3_165
; %bb.162:                              ;   in Loop: Header=BB3_73 Depth=3
	v_mov_b64_e32 v[20:21], v[8:9]
	v_dual_mov_b32 v2, 0 :: v_dual_mov_b32 v22, v0
	v_bfrev_b32_e32 v15, -2
	s_mov_b32 s36, 0
.LBB3_163:                              ;   Parent Loop BB3_17 Depth=1
                                        ;     Parent Loop BB3_26 Depth=2
                                        ;       Parent Loop BB3_73 Depth=3
                                        ; =>      This Inner Loop Header: Depth=4
	global_load_b32 v23, v[20:21], off
	v_cmp_eq_u32_e32 vcc_lo, 0x7fffffff, v15
	v_add_nc_u32_e32 v24, 1, v22
	s_wait_xcnt 0x0
	v_add_nc_u64_e32 v[20:21], 0x400, v[20:21]
	s_wait_loadcnt 0x0
	v_cmp_lt_f32_e64 s26, v2, |v23|
	s_or_b32 vcc_lo, s26, vcc_lo
	v_dual_cndmask_b32 v15, v15, v24 :: v_dual_add_nc_u32 v22, 0x100, v22
	v_cndmask_b32_e64 v2, v2, |v23|, vcc_lo
	s_delay_alu instid0(VALU_DEP_2) | instskip(SKIP_1) | instid1(SALU_CYCLE_1)
	v_cmp_ge_u32_e64 s11, v22, v34
	s_or_b32 s36, s11, s36
	s_and_not1_b32 exec_lo, exec_lo, s36
	s_cbranch_execnz .LBB3_163
; %bb.164:                              ;   in Loop: Header=BB3_73 Depth=3
	s_or_b32 exec_lo, exec_lo, s36
.LBB3_165:                              ;   in Loop: Header=BB3_73 Depth=3
	s_delay_alu instid0(SALU_CYCLE_1)
	s_or_b32 exec_lo, exec_lo, s12
	ds_store_2addr_stride64_b32 v28, v2, v15 offset1:8
	s_wait_dscnt 0x0
	s_barrier_signal -1
	s_barrier_wait -1
	s_and_saveexec_b32 s12, s0
	s_cbranch_execz .LBB3_171
; %bb.166:                              ;   in Loop: Header=BB3_73 Depth=3
	ds_load_2addr_stride64_b32 v[20:21], v28 offset0:2 offset1:10
	s_mov_b32 s90, exec_lo
	s_wait_dscnt 0x0
	v_cmp_lt_f32_e64 s36, v2, v20
	v_cmpx_nlt_f32_e32 v2, v20
; %bb.167:                              ;   in Loop: Header=BB3_73 Depth=3
	v_cmp_eq_f32_e32 vcc_lo, v2, v20
	v_cmp_gt_i32_e64 s11, v15, v21
	s_and_not1_b32 s26, s36, exec_lo
	s_and_b32 s11, vcc_lo, s11
	s_delay_alu instid0(SALU_CYCLE_1) | instskip(NEXT) | instid1(SALU_CYCLE_1)
	s_and_b32 s11, s11, exec_lo
	s_or_b32 s36, s26, s11
; %bb.168:                              ;   in Loop: Header=BB3_73 Depth=3
	s_or_b32 exec_lo, exec_lo, s90
	s_and_saveexec_b32 s11, s36
; %bb.169:                              ;   in Loop: Header=BB3_73 Depth=3
	v_dual_mov_b32 v15, v21 :: v_dual_mov_b32 v2, v20
	ds_store_2addr_stride64_b32 v28, v20, v21 offset1:8
; %bb.170:                              ;   in Loop: Header=BB3_73 Depth=3
	s_or_b32 exec_lo, exec_lo, s11
.LBB3_171:                              ;   in Loop: Header=BB3_73 Depth=3
	s_delay_alu instid0(SALU_CYCLE_1)
	s_or_b32 exec_lo, exec_lo, s12
	s_wait_dscnt 0x0
	s_barrier_signal -1
	s_barrier_wait -1
	s_and_saveexec_b32 s12, s1
	s_cbranch_execz .LBB3_177
; %bb.172:                              ;   in Loop: Header=BB3_73 Depth=3
	ds_load_2addr_stride64_b32 v[20:21], v28 offset0:1 offset1:9
	s_mov_b32 s90, exec_lo
	s_wait_dscnt 0x0
	v_cmp_lt_f32_e64 s36, v2, v20
	v_cmpx_nlt_f32_e32 v2, v20
; %bb.173:                              ;   in Loop: Header=BB3_73 Depth=3
	v_cmp_eq_f32_e32 vcc_lo, v2, v20
	v_cmp_gt_i32_e64 s11, v15, v21
	s_and_not1_b32 s26, s36, exec_lo
	s_and_b32 s11, vcc_lo, s11
	s_delay_alu instid0(SALU_CYCLE_1) | instskip(NEXT) | instid1(SALU_CYCLE_1)
	s_and_b32 s11, s11, exec_lo
	s_or_b32 s36, s26, s11
; %bb.174:                              ;   in Loop: Header=BB3_73 Depth=3
	s_or_b32 exec_lo, exec_lo, s90
	s_and_saveexec_b32 s11, s36
; %bb.175:                              ;   in Loop: Header=BB3_73 Depth=3
	v_dual_mov_b32 v15, v21 :: v_dual_mov_b32 v2, v20
	ds_store_2addr_stride64_b32 v28, v20, v21 offset1:8
; %bb.176:                              ;   in Loop: Header=BB3_73 Depth=3
	s_or_b32 exec_lo, exec_lo, s11
.LBB3_177:                              ;   in Loop: Header=BB3_73 Depth=3
	s_delay_alu instid0(SALU_CYCLE_1)
	s_or_b32 exec_lo, exec_lo, s12
	s_wait_dscnt 0x0
	s_barrier_signal -1
	s_barrier_wait -1
	s_and_saveexec_b32 s36, s3
	s_cbranch_execz .LBB3_200
; %bb.178:                              ;   in Loop: Header=BB3_73 Depth=3
	v_add_nc_u32_e32 v20, 0x80, v28
	s_mov_b32 s90, exec_lo
	ds_load_2addr_stride64_b32 v[20:21], v20 offset1:8
	s_wait_dscnt 0x0
	v_cmp_lt_f32_e64 s12, v2, v20
	v_cmpx_nlt_f32_e32 v2, v20
; %bb.179:                              ;   in Loop: Header=BB3_73 Depth=3
	v_cmp_eq_f32_e32 vcc_lo, v2, v20
	v_cmp_gt_i32_e64 s11, v15, v21
	s_and_not1_b32 s12, s12, exec_lo
	s_and_b32 s11, vcc_lo, s11
	s_delay_alu instid0(SALU_CYCLE_1) | instskip(NEXT) | instid1(SALU_CYCLE_1)
	s_and_b32 s11, s11, exec_lo
	s_or_b32 s12, s12, s11
; %bb.180:                              ;   in Loop: Header=BB3_73 Depth=3
	s_or_b32 exec_lo, exec_lo, s90
	s_and_saveexec_b32 s11, s12
; %bb.181:                              ;   in Loop: Header=BB3_73 Depth=3
	v_dual_mov_b32 v2, v20 :: v_dual_mov_b32 v15, v21
	ds_store_2addr_stride64_b32 v28, v20, v21 offset1:8
; %bb.182:                              ;   in Loop: Header=BB3_73 Depth=3
	s_or_b32 exec_lo, exec_lo, s11
	v_add_nc_u32_e32 v20, 64, v28
	s_mov_b32 s90, exec_lo
	ds_load_2addr_stride64_b32 v[20:21], v20 offset1:8
	s_wait_dscnt 0x0
	v_cmp_lt_f32_e64 s12, v2, v20
	v_cmpx_nlt_f32_e32 v2, v20
; %bb.183:                              ;   in Loop: Header=BB3_73 Depth=3
	v_cmp_eq_f32_e32 vcc_lo, v2, v20
	v_cmp_gt_i32_e64 s11, v15, v21
	s_and_not1_b32 s12, s12, exec_lo
	s_and_b32 s11, vcc_lo, s11
	s_delay_alu instid0(SALU_CYCLE_1) | instskip(NEXT) | instid1(SALU_CYCLE_1)
	s_and_b32 s11, s11, exec_lo
	s_or_b32 s12, s12, s11
; %bb.184:                              ;   in Loop: Header=BB3_73 Depth=3
	s_or_b32 exec_lo, exec_lo, s90
	s_and_saveexec_b32 s11, s12
; %bb.185:                              ;   in Loop: Header=BB3_73 Depth=3
	v_dual_mov_b32 v2, v20 :: v_dual_mov_b32 v15, v21
	ds_store_2addr_stride64_b32 v28, v20, v21 offset1:8
; %bb.186:                              ;   in Loop: Header=BB3_73 Depth=3
	s_or_b32 exec_lo, exec_lo, s11
	;; [unrolled: 22-line block ×5, first 2 shown]
	v_add_nc_u32_e32 v20, 4, v28
	ds_load_2addr_stride64_b32 v[20:21], v20 offset1:8
	s_wait_dscnt 0x0
	v_cmp_eq_f32_e32 vcc_lo, v2, v20
	v_cmp_gt_i32_e64 s11, v15, v21
	v_cmp_lt_f32_e64 s12, v2, v20
	s_and_b32 s11, vcc_lo, s11
	s_delay_alu instid0(SALU_CYCLE_1) | instskip(NEXT) | instid1(SALU_CYCLE_1)
	s_or_b32 s11, s12, s11
	s_and_b32 exec_lo, exec_lo, s11
; %bb.199:                              ;   in Loop: Header=BB3_73 Depth=3
	ds_store_2addr_stride64_b32 v28, v20, v21 offset1:8
.LBB3_200:                              ;   in Loop: Header=BB3_73 Depth=3
	s_or_b32 exec_lo, exec_lo, s36
	s_wait_dscnt 0x0
	s_barrier_signal -1
	s_barrier_wait -1
	ds_load_b32 v2, v33
	s_add_co_i32 s11, s98, 1
	s_wait_dscnt 0x0
	v_cmp_ge_f32_e32 vcc_lo, v2, v35
	v_cndmask_b32_e64 v2, 0, 1, vcc_lo
	s_delay_alu instid0(VALU_DEP_1)
	v_readfirstlane_b32 s12, v2
	s_add_co_i32 s96, s96, s12
	s_cmp_lt_u32 s98, 4
	s_cselect_b32 s26, -1, 0
	s_cmp_lt_u32 s96, 2
	s_cselect_b32 s12, -1, 0
	s_delay_alu instid0(SALU_CYCLE_1) | instskip(NEXT) | instid1(SALU_CYCLE_1)
	s_and_b32 s26, s26, s12
	s_and_b32 vcc_lo, exec_lo, s26
	s_cbranch_vccz .LBB3_202
; %bb.201:                              ;   in Loop: Header=BB3_73 Depth=3
	s_mov_b32 s98, s11
	v_mov_b32_e32 v2, 0
	v_bfrev_b32_e32 v15, -2
	s_and_saveexec_b32 s12, s7
	s_cbranch_execnz .LBB3_70
	s_branch .LBB3_73
.LBB3_202:                              ;   in Loop: Header=BB3_26 Depth=2
	s_and_b32 s12, s33, s12
	s_delay_alu instid0(SALU_CYCLE_1)
	s_and_saveexec_b32 s11, s12
	s_cbranch_execz .LBB3_204
; %bb.203:                              ;   in Loop: Header=BB3_26 Depth=2
	ds_load_b32 v2, v3
	s_add_co_i32 s12, s88, 1
	s_wait_dscnt 0x0
	v_dual_mov_b32 v15, s12 :: v_dual_add_nc_u32 v20, 1, v2
	global_store_b32 v2, v15, s[46:47] scale_offset
	ds_store_b32 v3, v20
.LBB3_204:                              ;   in Loop: Header=BB3_26 Depth=2
	s_wait_xcnt 0x0
	s_or_b32 exec_lo, exec_lo, s11
	v_mov_b32_e32 v2, 0
	v_bfrev_b32_e32 v15, -2
	s_and_saveexec_b32 s12, s7
	s_cbranch_execz .LBB3_208
; %bb.205:                              ;   in Loop: Header=BB3_26 Depth=2
	v_mov_b64_e32 v[20:21], v[8:9]
	v_dual_mov_b32 v2, 0 :: v_dual_mov_b32 v22, v0
	v_bfrev_b32_e32 v15, -2
	s_mov_b32 s36, 0
.LBB3_206:                              ;   Parent Loop BB3_17 Depth=1
                                        ;     Parent Loop BB3_26 Depth=2
                                        ; =>    This Inner Loop Header: Depth=3
	global_load_b32 v23, v[20:21], off
	v_cmp_eq_u32_e32 vcc_lo, 0x7fffffff, v15
	v_add_nc_u32_e32 v24, 1, v22
	s_wait_xcnt 0x0
	v_add_nc_u64_e32 v[20:21], 0x400, v[20:21]
	s_wait_loadcnt 0x0
	v_cmp_lt_f32_e64 s26, v2, |v23|
	s_or_b32 vcc_lo, s26, vcc_lo
	v_dual_cndmask_b32 v15, v15, v24 :: v_dual_add_nc_u32 v22, 0x100, v22
	v_cndmask_b32_e64 v2, v2, |v23|, vcc_lo
	s_delay_alu instid0(VALU_DEP_2) | instskip(SKIP_1) | instid1(SALU_CYCLE_1)
	v_cmp_ge_u32_e64 s11, v22, v34
	s_or_b32 s36, s11, s36
	s_and_not1_b32 exec_lo, exec_lo, s36
	s_cbranch_execnz .LBB3_206
; %bb.207:                              ;   in Loop: Header=BB3_26 Depth=2
	s_or_b32 exec_lo, exec_lo, s36
.LBB3_208:                              ;   in Loop: Header=BB3_26 Depth=2
	s_delay_alu instid0(SALU_CYCLE_1)
	s_or_b32 exec_lo, exec_lo, s12
	ds_store_2addr_stride64_b32 v28, v2, v15 offset1:8
	s_wait_storecnt_dscnt 0x0
	s_barrier_signal -1
	s_barrier_wait -1
	s_and_saveexec_b32 s12, s0
	s_cbranch_execz .LBB3_214
; %bb.209:                              ;   in Loop: Header=BB3_26 Depth=2
	ds_load_2addr_stride64_b32 v[20:21], v28 offset0:2 offset1:10
	s_mov_b32 s90, exec_lo
	s_wait_dscnt 0x0
	v_cmp_lt_f32_e64 s36, v2, v20
	v_cmpx_nlt_f32_e32 v2, v20
; %bb.210:                              ;   in Loop: Header=BB3_26 Depth=2
	v_cmp_eq_f32_e32 vcc_lo, v2, v20
	v_cmp_gt_i32_e64 s11, v15, v21
	s_and_not1_b32 s26, s36, exec_lo
	s_and_b32 s11, vcc_lo, s11
	s_delay_alu instid0(SALU_CYCLE_1) | instskip(NEXT) | instid1(SALU_CYCLE_1)
	s_and_b32 s11, s11, exec_lo
	s_or_b32 s36, s26, s11
; %bb.211:                              ;   in Loop: Header=BB3_26 Depth=2
	s_or_b32 exec_lo, exec_lo, s90
	s_and_saveexec_b32 s11, s36
; %bb.212:                              ;   in Loop: Header=BB3_26 Depth=2
	v_dual_mov_b32 v15, v21 :: v_dual_mov_b32 v2, v20
	ds_store_2addr_stride64_b32 v28, v20, v21 offset1:8
; %bb.213:                              ;   in Loop: Header=BB3_26 Depth=2
	s_or_b32 exec_lo, exec_lo, s11
.LBB3_214:                              ;   in Loop: Header=BB3_26 Depth=2
	s_delay_alu instid0(SALU_CYCLE_1)
	s_or_b32 exec_lo, exec_lo, s12
	s_wait_dscnt 0x0
	s_barrier_signal -1
	s_barrier_wait -1
	s_and_saveexec_b32 s12, s1
	s_cbranch_execz .LBB3_220
; %bb.215:                              ;   in Loop: Header=BB3_26 Depth=2
	ds_load_2addr_stride64_b32 v[20:21], v28 offset0:1 offset1:9
	s_mov_b32 s90, exec_lo
	s_wait_dscnt 0x0
	v_cmp_lt_f32_e64 s36, v2, v20
	v_cmpx_nlt_f32_e32 v2, v20
; %bb.216:                              ;   in Loop: Header=BB3_26 Depth=2
	v_cmp_eq_f32_e32 vcc_lo, v2, v20
	v_cmp_gt_i32_e64 s11, v15, v21
	s_and_not1_b32 s26, s36, exec_lo
	s_and_b32 s11, vcc_lo, s11
	s_delay_alu instid0(SALU_CYCLE_1) | instskip(NEXT) | instid1(SALU_CYCLE_1)
	s_and_b32 s11, s11, exec_lo
	s_or_b32 s36, s26, s11
; %bb.217:                              ;   in Loop: Header=BB3_26 Depth=2
	s_or_b32 exec_lo, exec_lo, s90
	s_and_saveexec_b32 s11, s36
; %bb.218:                              ;   in Loop: Header=BB3_26 Depth=2
	v_dual_mov_b32 v15, v21 :: v_dual_mov_b32 v2, v20
	ds_store_2addr_stride64_b32 v28, v20, v21 offset1:8
; %bb.219:                              ;   in Loop: Header=BB3_26 Depth=2
	s_or_b32 exec_lo, exec_lo, s11
.LBB3_220:                              ;   in Loop: Header=BB3_26 Depth=2
	s_delay_alu instid0(SALU_CYCLE_1)
	s_or_b32 exec_lo, exec_lo, s12
	s_wait_dscnt 0x0
	s_barrier_signal -1
	s_barrier_wait -1
	s_and_saveexec_b32 s36, s3
	s_cbranch_execz .LBB3_243
; %bb.221:                              ;   in Loop: Header=BB3_26 Depth=2
	v_add_nc_u32_e32 v20, 0x80, v28
	s_mov_b32 s90, exec_lo
	ds_load_2addr_stride64_b32 v[20:21], v20 offset1:8
	s_wait_dscnt 0x0
	v_cmp_lt_f32_e64 s12, v2, v20
	v_cmpx_nlt_f32_e32 v2, v20
; %bb.222:                              ;   in Loop: Header=BB3_26 Depth=2
	v_cmp_eq_f32_e32 vcc_lo, v2, v20
	v_cmp_gt_i32_e64 s11, v15, v21
	s_and_not1_b32 s12, s12, exec_lo
	s_and_b32 s11, vcc_lo, s11
	s_delay_alu instid0(SALU_CYCLE_1) | instskip(NEXT) | instid1(SALU_CYCLE_1)
	s_and_b32 s11, s11, exec_lo
	s_or_b32 s12, s12, s11
; %bb.223:                              ;   in Loop: Header=BB3_26 Depth=2
	s_or_b32 exec_lo, exec_lo, s90
	s_and_saveexec_b32 s11, s12
; %bb.224:                              ;   in Loop: Header=BB3_26 Depth=2
	v_dual_mov_b32 v2, v20 :: v_dual_mov_b32 v15, v21
	ds_store_2addr_stride64_b32 v28, v20, v21 offset1:8
; %bb.225:                              ;   in Loop: Header=BB3_26 Depth=2
	s_or_b32 exec_lo, exec_lo, s11
	v_add_nc_u32_e32 v20, 64, v28
	s_mov_b32 s90, exec_lo
	ds_load_2addr_stride64_b32 v[20:21], v20 offset1:8
	s_wait_dscnt 0x0
	v_cmp_lt_f32_e64 s12, v2, v20
	v_cmpx_nlt_f32_e32 v2, v20
; %bb.226:                              ;   in Loop: Header=BB3_26 Depth=2
	v_cmp_eq_f32_e32 vcc_lo, v2, v20
	v_cmp_gt_i32_e64 s11, v15, v21
	s_and_not1_b32 s12, s12, exec_lo
	s_and_b32 s11, vcc_lo, s11
	s_delay_alu instid0(SALU_CYCLE_1) | instskip(NEXT) | instid1(SALU_CYCLE_1)
	s_and_b32 s11, s11, exec_lo
	s_or_b32 s12, s12, s11
; %bb.227:                              ;   in Loop: Header=BB3_26 Depth=2
	s_or_b32 exec_lo, exec_lo, s90
	s_and_saveexec_b32 s11, s12
; %bb.228:                              ;   in Loop: Header=BB3_26 Depth=2
	v_dual_mov_b32 v2, v20 :: v_dual_mov_b32 v15, v21
	ds_store_2addr_stride64_b32 v28, v20, v21 offset1:8
; %bb.229:                              ;   in Loop: Header=BB3_26 Depth=2
	s_or_b32 exec_lo, exec_lo, s11
	;; [unrolled: 22-line block ×5, first 2 shown]
	v_add_nc_u32_e32 v20, 4, v28
	ds_load_2addr_stride64_b32 v[20:21], v20 offset1:8
	s_wait_dscnt 0x0
	v_cmp_eq_f32_e32 vcc_lo, v2, v20
	v_cmp_gt_i32_e64 s11, v15, v21
	v_cmp_lt_f32_e64 s12, v2, v20
	s_and_b32 s11, vcc_lo, s11
	s_delay_alu instid0(SALU_CYCLE_1) | instskip(NEXT) | instid1(SALU_CYCLE_1)
	s_or_b32 s11, s12, s11
	s_and_b32 exec_lo, exec_lo, s11
; %bb.242:                              ;   in Loop: Header=BB3_26 Depth=2
	ds_store_2addr_stride64_b32 v28, v20, v21 offset1:8
.LBB3_243:                              ;   in Loop: Header=BB3_26 Depth=2
	s_or_b32 exec_lo, exec_lo, s36
	v_mov_b32_e32 v2, 0
	s_and_saveexec_b32 s11, s7
	s_cbranch_execz .LBB3_247
; %bb.244:                              ;   in Loop: Header=BB3_26 Depth=2
	v_mov_b64_e32 v[20:21], v[8:9]
	v_dual_mov_b32 v2, 0 :: v_dual_mov_b32 v15, v0
	s_mov_b32 s12, 0
.LBB3_245:                              ;   Parent Loop BB3_17 Depth=1
                                        ;     Parent Loop BB3_26 Depth=2
                                        ; =>    This Inner Loop Header: Depth=3
	global_load_b32 v22, v[20:21], off
	v_add_nc_u32_e32 v15, 0x100, v15
	s_wait_xcnt 0x0
	v_add_nc_u64_e32 v[20:21], 0x400, v[20:21]
	s_wait_loadcnt 0x0
	v_fmac_f32_e32 v2, v22, v22
	v_cmp_ge_u32_e32 vcc_lo, v15, v34
	s_or_b32 s12, vcc_lo, s12
	s_delay_alu instid0(SALU_CYCLE_1)
	s_and_not1_b32 exec_lo, exec_lo, s12
	s_cbranch_execnz .LBB3_245
; %bb.246:                              ;   in Loop: Header=BB3_26 Depth=2
	s_or_b32 exec_lo, exec_lo, s12
.LBB3_247:                              ;   in Loop: Header=BB3_26 Depth=2
	s_delay_alu instid0(SALU_CYCLE_1)
	s_or_b32 exec_lo, exec_lo, s11
	ds_store_b32 v28, v2 offset:1024
	s_wait_dscnt 0x0
	s_barrier_signal -1
	s_barrier_wait -1
	s_and_saveexec_b32 s11, s0
	s_cbranch_execz .LBB3_249
; %bb.248:                              ;   in Loop: Header=BB3_26 Depth=2
	ds_load_b32 v15, v28 offset:1536
	s_wait_dscnt 0x0
	v_add_f32_e32 v2, v2, v15
.LBB3_249:                              ;   in Loop: Header=BB3_26 Depth=2
	s_or_b32 exec_lo, exec_lo, s11
	s_barrier_signal -1
	s_barrier_wait -1
	s_and_saveexec_b32 s11, s0
; %bb.250:                              ;   in Loop: Header=BB3_26 Depth=2
	ds_store_b32 v28, v2 offset:1024
; %bb.251:                              ;   in Loop: Header=BB3_26 Depth=2
	s_or_b32 exec_lo, exec_lo, s11
	s_wait_dscnt 0x0
	s_barrier_signal -1
	s_barrier_wait -1
	s_and_saveexec_b32 s11, s1
	s_cbranch_execz .LBB3_253
; %bb.252:                              ;   in Loop: Header=BB3_26 Depth=2
	ds_load_b32 v15, v28 offset:1280
	s_wait_dscnt 0x0
	v_add_f32_e32 v2, v2, v15
.LBB3_253:                              ;   in Loop: Header=BB3_26 Depth=2
	s_or_b32 exec_lo, exec_lo, s11
	s_barrier_signal -1
	s_barrier_wait -1
	s_and_saveexec_b32 s11, s1
; %bb.254:                              ;   in Loop: Header=BB3_26 Depth=2
	ds_store_b32 v28, v2 offset:1024
; %bb.255:                              ;   in Loop: Header=BB3_26 Depth=2
	s_or_b32 exec_lo, exec_lo, s11
	s_wait_dscnt 0x0
	s_barrier_signal -1
	s_barrier_wait -1
	s_and_saveexec_b32 s11, s3
	s_cbranch_execz .LBB3_257
; %bb.256:                              ;   in Loop: Header=BB3_26 Depth=2
	v_add_nc_u32_e32 v2, 0x400, v28
	ds_load_2addr_b32 v[20:21], v2 offset1:32
	s_wait_dscnt 0x0
	v_add_f32_e32 v15, v20, v21
	ds_store_b32 v28, v15 offset:1024
	global_wb scope:SCOPE_DEV
	s_wait_storecnt_dscnt 0x0
	global_inv scope:SCOPE_DEV
	ds_load_2addr_b32 v[20:21], v2 offset1:16
	s_wait_dscnt 0x0
	v_add_f32_e32 v15, v20, v21
	ds_store_b32 v28, v15 offset:1024
	global_wb scope:SCOPE_DEV
	s_wait_storecnt 0x0
	s_wait_loadcnt_dscnt 0x0
	global_inv scope:SCOPE_DEV
	ds_load_2addr_b32 v[20:21], v2 offset1:8
	s_wait_dscnt 0x0
	v_add_f32_e32 v15, v20, v21
	ds_store_b32 v28, v15 offset:1024
	global_wb scope:SCOPE_DEV
	s_wait_storecnt 0x0
	s_wait_loadcnt_dscnt 0x0
	;; [unrolled: 8-line block ×3, first 2 shown]
	global_inv scope:SCOPE_DEV
	ds_load_2addr_b32 v[20:21], v2 offset1:2
	s_wait_dscnt 0x0
	v_dual_add_f32 v2, v20, v21 :: v_dual_add_nc_u32 v15, 0x400, v28
	ds_store_b32 v28, v2 offset:1024
	global_wb scope:SCOPE_DEV
	s_wait_storecnt 0x0
	s_wait_loadcnt_dscnt 0x0
	global_inv scope:SCOPE_DEV
	ds_load_2addr_b32 v[20:21], v15 offset1:1
	s_wait_dscnt 0x0
	v_add_f32_e32 v2, v20, v21
	ds_store_b32 v28, v2 offset:1024
	global_wb scope:SCOPE_DEV
	s_wait_storecnt 0x0
	s_wait_loadcnt_dscnt 0x0
	global_inv scope:SCOPE_DEV
.LBB3_257:                              ;   in Loop: Header=BB3_26 Depth=2
	s_or_b32 exec_lo, exec_lo, s11
	s_and_saveexec_b32 s11, s2
	s_cbranch_execz .LBB3_259
; %bb.258:                              ;   in Loop: Header=BB3_26 Depth=2
	ds_load_b32 v2, v33 offset:1024
	s_wait_dscnt 0x0
	v_readfirstlane_b32 s12, v2
	v_cmp_gt_f32_e32 vcc_lo, 0xf800000, v2
	s_mul_f32 s26, s12, 0x4f800000
	s_cmp_lt_f32 s12, 0xf800000
	s_delay_alu instid0(SALU_CYCLE_2) | instskip(NEXT) | instid1(SALU_CYCLE_1)
	s_cselect_b32 s12, s26, s12
	v_s_sqrt_f32 s26, s12
	s_mov_b32 s36, s12
	s_mov_b32 s91, s12
	s_delay_alu instid0(TRANS32_DEP_1) | instskip(NEXT) | instid1(SALU_CYCLE_1)
	s_add_co_i32 s27, s26, -1
	s_xor_b32 s90, s27, 0x80000000
	s_delay_alu instid0(SALU_CYCLE_1) | instskip(NEXT) | instid1(SALU_CYCLE_3)
	s_fmac_f32 s36, s90, s26
	s_cmp_le_f32 s36, 0
	s_cselect_b32 s27, s27, s26
	s_add_co_i32 s36, s26, 1
	s_delay_alu instid0(SALU_CYCLE_1) | instskip(NEXT) | instid1(SALU_CYCLE_1)
	s_xor_b32 s90, s36, 0x80000000
	s_fmac_f32 s91, s90, s26
	s_delay_alu instid0(SALU_CYCLE_3) | instskip(SKIP_1) | instid1(SALU_CYCLE_1)
	s_cmp_gt_f32 s91, 0
	s_cselect_b32 s26, s36, s27
	s_mul_f32 s27, s26, 0x37800000
	s_delay_alu instid0(SALU_CYCLE_3) | instskip(NEXT) | instid1(VALU_DEP_1)
	v_mov_b32_e32 v15, s27
	v_cndmask_b32_e32 v2, s26, v15, vcc_lo
	v_cmp_class_f32_e64 s26, s12, 0x260
	s_delay_alu instid0(VALU_DEP_1)
	v_cndmask_b32_e64 v2, v2, s12, s26
	ds_store_b32 v33, v2 offset:1024
.LBB3_259:                              ;   in Loop: Header=BB3_26 Depth=2
	s_or_b32 exec_lo, exec_lo, s11
	s_wait_loadcnt_dscnt 0x0
	s_barrier_signal -1
	s_barrier_wait -1
	ds_load_2addr_stride64_b32 v[20:21], v33 offset0:4 offset1:8
	s_wait_dscnt 0x0
	global_load_b32 v2, v21, s[48:49] offset:-4 scale_offset
	s_wait_loadcnt 0x0
	s_barrier_signal -1
	s_barrier_wait -1
	s_wait_xcnt 0x0
	s_and_saveexec_b32 s11, s5
	s_cbranch_execz .LBB3_269
; %bb.260:                              ;   in Loop: Header=BB3_26 Depth=2
	v_cmp_nle_f32_e32 vcc_lo, 0, v2
	s_mov_b32 s36, -1
	v_cndmask_b32_e64 v15, 1.0, -1.0, vcc_lo
	s_delay_alu instid0(VALU_DEP_1) | instskip(SKIP_1) | instid1(VALU_DEP_2)
	v_div_scale_f32 v2, null, v20, v20, v15
	v_div_scale_f32 v23, vcc_lo, v15, v20, v15
	v_rcp_f32_e32 v21, v2
	v_nop
	v_xor_b32_e32 v2, 0x80000000, v2
	s_delay_alu instid0(TRANS32_DEP_1) | instid1(VALU_DEP_1)
	v_fma_f32 v22, v2, v21, 1.0
	s_delay_alu instid0(VALU_DEP_1) | instskip(NEXT) | instid1(VALU_DEP_1)
	v_fmac_f32_e32 v21, v22, v21
	v_mul_f32_e32 v22, v23, v21
	s_delay_alu instid0(VALU_DEP_1) | instskip(NEXT) | instid1(VALU_DEP_1)
	v_fma_f32 v24, v2, v22, v23
	v_fmac_f32_e32 v22, v24, v21
	s_delay_alu instid0(VALU_DEP_1) | instskip(NEXT) | instid1(VALU_DEP_1)
	v_dual_fmac_f32 v23, v2, v22 :: v_dual_mov_b32 v2, v0
	v_div_fmas_f32 v21, v23, v21, v22
	v_mov_b64_e32 v[22:23], v[6:7]
	s_delay_alu instid0(VALU_DEP_2)
	v_div_fixup_f32 v20, v21, v20, v15
	s_and_saveexec_b32 s12, s9
	s_cbranch_execz .LBB3_266
; %bb.261:                              ;   in Loop: Header=BB3_26 Depth=2
	v_mov_b64_e32 v[22:23], v[0:1]
	s_delay_alu instid0(VALU_DEP_2)
	v_dual_mov_b32 v21, v20 :: v_dual_mov_b32 v15, v36
	s_mov_b32 s36, 0
.LBB3_262:                              ;   Parent Loop BB3_17 Depth=1
                                        ;     Parent Loop BB3_26 Depth=2
                                        ; =>    This Inner Loop Header: Depth=3
	s_delay_alu instid0(VALU_DEP_1) | instskip(SKIP_1) | instid1(VALU_DEP_2)
	v_dual_mov_b32 v2, v22 :: v_dual_add_nc_u32 v15, -2, v15
	v_add_nc_u32_e32 v22, 0x200, v22
	v_lshl_add_u64 v[24:25], v[2:3], 2, s[48:49]
	v_dual_mov_b32 v2, v23 :: v_dual_add_nc_u32 v23, 0x200, v23
	s_delay_alu instid0(VALU_DEP_4) | instskip(NEXT) | instid1(VALU_DEP_2)
	v_cmp_eq_u32_e32 vcc_lo, 0, v15
	v_lshl_add_u64 v[26:27], v[2:3], 2, s[48:49]
	s_clause 0x1
	global_load_b32 v38, v[24:25], off
	global_load_b32 v39, v[26:27], off
	s_or_b32 s36, vcc_lo, s36
	s_wait_loadcnt 0x0
	v_pk_mul_f32 v[38:39], v[20:21], v[38:39]
	s_clause 0x1
	global_store_b32 v[24:25], v38, off
	global_store_b32 v[26:27], v39, off
	s_wait_xcnt 0x0
	s_and_not1_b32 exec_lo, exec_lo, s36
	s_cbranch_execnz .LBB3_262
; %bb.263:                              ;   in Loop: Header=BB3_26 Depth=2
	s_or_b32 exec_lo, exec_lo, s36
	s_mov_b32 s36, 0
                                        ; implicit-def: $vgpr22_vgpr23
	s_and_saveexec_b32 s90, s10
; %bb.264:                              ;   in Loop: Header=BB3_26 Depth=2
	v_mov_b32_e32 v15, v3
	s_mov_b32 s36, exec_lo
	s_delay_alu instid0(VALU_DEP_1)
	v_lshlrev_b64_e32 v[22:23], 2, v[14:15]
; %bb.265:                              ;   in Loop: Header=BB3_26 Depth=2
	s_or_b32 exec_lo, exec_lo, s90
	v_mov_b32_e32 v2, v14
	s_or_not1_b32 s36, s36, exec_lo
.LBB3_266:                              ;   in Loop: Header=BB3_26 Depth=2
	s_or_b32 exec_lo, exec_lo, s12
	s_delay_alu instid0(SALU_CYCLE_1)
	s_and_b32 exec_lo, exec_lo, s36
	s_cbranch_execz .LBB3_269
; %bb.267:                              ;   in Loop: Header=BB3_26 Depth=2
	v_add_nc_u64_e32 v[22:23], s[48:49], v[22:23]
	s_mov_b32 s12, 0
.LBB3_268:                              ;   Parent Loop BB3_17 Depth=1
                                        ;     Parent Loop BB3_26 Depth=2
                                        ; =>    This Inner Loop Header: Depth=3
	global_load_b32 v15, v[22:23], off
	s_wait_loadcnt 0x0
	v_dual_mul_f32 v15, v20, v15 :: v_dual_add_nc_u32 v2, 0x100, v2
	s_delay_alu instid0(VALU_DEP_1) | instskip(SKIP_4) | instid1(SALU_CYCLE_1)
	v_cmp_lt_i32_e32 vcc_lo, s78, v2
	global_store_b32 v[22:23], v15, off
	s_wait_xcnt 0x0
	v_add_nc_u64_e32 v[22:23], 0x400, v[22:23]
	s_or_b32 s12, vcc_lo, s12
	s_and_not1_b32 exec_lo, exec_lo, s12
	s_cbranch_execnz .LBB3_268
.LBB3_269:                              ;   in Loop: Header=BB3_26 Depth=2
	s_or_b32 exec_lo, exec_lo, s11
	s_wait_storecnt 0x0
	s_barrier_signal -1
	s_barrier_wait -1
	s_and_saveexec_b32 s12, s4
	s_cbranch_execz .LBB3_274
.LBB3_270:                              ;   in Loop: Header=BB3_26 Depth=2
	v_mov_b32_e32 v15, v0
	s_mov_b32 s36, 0
	s_branch .LBB3_272
.LBB3_271:                              ;   in Loop: Header=BB3_272 Depth=3
	s_wait_xcnt 0x0
	s_or_b32 exec_lo, exec_lo, s11
	v_add_nc_u32_e32 v20, s103, v15
	v_add_nc_u32_e32 v15, 0x100, v15
	s_wait_loadcnt 0x0
	global_store_b64 v20, v[2:3], s[54:55] scale_offset
	v_cmp_le_i32_e32 vcc_lo, s24, v15
	s_or_b32 s36, vcc_lo, s36
	s_wait_xcnt 0x0
	s_and_not1_b32 exec_lo, exec_lo, s36
	s_cbranch_execz .LBB3_274
.LBB3_272:                              ;   Parent Loop BB3_17 Depth=1
                                        ;     Parent Loop BB3_26 Depth=2
                                        ; =>    This Inner Loop Header: Depth=3
	s_delay_alu instid0(VALU_DEP_1) | instskip(SKIP_3) | instid1(SALU_CYCLE_1)
	v_cmp_le_i32_e32 vcc_lo, s74, v15
	v_cmp_gt_i32_e64 s11, s76, v15
	v_mov_b32_e32 v2, 0
	s_and_b32 s26, vcc_lo, s11
	s_and_saveexec_b32 s11, s26
	s_cbranch_execz .LBB3_271
; %bb.273:                              ;   in Loop: Header=BB3_272 Depth=3
	v_add_nc_u32_e32 v2, s101, v15
	global_load_b32 v2, v2, s[48:49] scale_offset
	s_branch .LBB3_271
.LBB3_274:                              ;   in Loop: Header=BB3_26 Depth=2
	s_or_b32 exec_lo, exec_lo, s12
	s_add_co_i32 s88, s88, 1
	s_add_co_i32 s102, s102, 1
	;; [unrolled: 1-line block ×3, first 2 shown]
	s_cmp_ge_i32 s88, s44
	s_wait_storecnt 0x0
	s_barrier_signal -1
	s_barrier_wait -1
	s_cselect_b32 s12, -1, 0
	s_mov_b32 s36, s43
	s_and_b32 vcc_lo, exec_lo, s12
	s_cbranch_vccnz .LBB3_15
.LBB3_275:                              ;   in Loop: Header=BB3_26 Depth=2
	s_mov_b32 s11, s89
	s_branch .LBB3_26
.LBB3_276:
	s_wait_xcnt 0x0
	s_and_saveexec_b32 s0, s2
	s_cbranch_execz .LBB3_278
; %bb.277:
	v_mov_b32_e32 v0, 0
	v_readlane_b32 s0, v44, 0
	v_readlane_b32 s6, v44, 6
	;; [unrolled: 1-line block ×4, first 2 shown]
	ds_load_b32 v1, v0
	v_readlane_b32 s2, v44, 2
	v_readlane_b32 s3, v44, 3
	s_add_nc_u64 s[0:1], s[6:7], s[34:35]
	v_readlane_b32 s4, v44, 4
	v_readlane_b32 s5, v44, 5
	s_wait_dscnt 0x0
	global_store_b32 v0, v1, s[0:1]
.LBB3_278:
	s_endpgm
	.section	.rodata,"a",@progbits
	.p2align	6, 0x0
	.amdhsa_kernel _ZN9rocsolver6v33100L12stein_kernelI19rocblas_complex_numIfEfPS3_EEviPT0_lS6_lPiS6_lS7_lS7_lT1_iilS7_lS7_S6_S7_S5_S5_
		.amdhsa_group_segment_fixed_size 8
		.amdhsa_private_segment_fixed_size 0
		.amdhsa_kernarg_size 168
		.amdhsa_user_sgpr_count 2
		.amdhsa_user_sgpr_dispatch_ptr 0
		.amdhsa_user_sgpr_queue_ptr 0
		.amdhsa_user_sgpr_kernarg_segment_ptr 1
		.amdhsa_user_sgpr_dispatch_id 0
		.amdhsa_user_sgpr_kernarg_preload_length 0
		.amdhsa_user_sgpr_kernarg_preload_offset 0
		.amdhsa_user_sgpr_private_segment_size 0
		.amdhsa_wavefront_size32 1
		.amdhsa_uses_dynamic_stack 0
		.amdhsa_enable_private_segment 0
		.amdhsa_system_sgpr_workgroup_id_x 1
		.amdhsa_system_sgpr_workgroup_id_y 1
		.amdhsa_system_sgpr_workgroup_id_z 0
		.amdhsa_system_sgpr_workgroup_info 0
		.amdhsa_system_vgpr_workitem_id 0
		.amdhsa_next_free_vgpr 45
		.amdhsa_next_free_sgpr 105
		.amdhsa_named_barrier_count 0
		.amdhsa_reserve_vcc 1
		.amdhsa_float_round_mode_32 0
		.amdhsa_float_round_mode_16_64 0
		.amdhsa_float_denorm_mode_32 3
		.amdhsa_float_denorm_mode_16_64 3
		.amdhsa_fp16_overflow 0
		.amdhsa_memory_ordered 1
		.amdhsa_forward_progress 1
		.amdhsa_inst_pref_size 86
		.amdhsa_round_robin_scheduling 0
		.amdhsa_exception_fp_ieee_invalid_op 0
		.amdhsa_exception_fp_denorm_src 0
		.amdhsa_exception_fp_ieee_div_zero 0
		.amdhsa_exception_fp_ieee_overflow 0
		.amdhsa_exception_fp_ieee_underflow 0
		.amdhsa_exception_fp_ieee_inexact 0
		.amdhsa_exception_int_div_zero 0
	.end_amdhsa_kernel
	.section	.text._ZN9rocsolver6v33100L12stein_kernelI19rocblas_complex_numIfEfPS3_EEviPT0_lS6_lPiS6_lS7_lS7_lT1_iilS7_lS7_S6_S7_S5_S5_,"axG",@progbits,_ZN9rocsolver6v33100L12stein_kernelI19rocblas_complex_numIfEfPS3_EEviPT0_lS6_lPiS6_lS7_lS7_lT1_iilS7_lS7_S6_S7_S5_S5_,comdat
.Lfunc_end3:
	.size	_ZN9rocsolver6v33100L12stein_kernelI19rocblas_complex_numIfEfPS3_EEviPT0_lS6_lPiS6_lS7_lS7_lT1_iilS7_lS7_S6_S7_S5_S5_, .Lfunc_end3-_ZN9rocsolver6v33100L12stein_kernelI19rocblas_complex_numIfEfPS3_EEviPT0_lS6_lPiS6_lS7_lS7_lT1_iilS7_lS7_S6_S7_S5_S5_
                                        ; -- End function
	.set _ZN9rocsolver6v33100L12stein_kernelI19rocblas_complex_numIfEfPS3_EEviPT0_lS6_lPiS6_lS7_lS7_lT1_iilS7_lS7_S6_S7_S5_S5_.num_vgpr, 45
	.set _ZN9rocsolver6v33100L12stein_kernelI19rocblas_complex_numIfEfPS3_EEviPT0_lS6_lPiS6_lS7_lS7_lT1_iilS7_lS7_S6_S7_S5_S5_.num_agpr, 0
	.set _ZN9rocsolver6v33100L12stein_kernelI19rocblas_complex_numIfEfPS3_EEviPT0_lS6_lPiS6_lS7_lS7_lT1_iilS7_lS7_S6_S7_S5_S5_.numbered_sgpr, 105
	.set _ZN9rocsolver6v33100L12stein_kernelI19rocblas_complex_numIfEfPS3_EEviPT0_lS6_lPiS6_lS7_lS7_lT1_iilS7_lS7_S6_S7_S5_S5_.num_named_barrier, 0
	.set _ZN9rocsolver6v33100L12stein_kernelI19rocblas_complex_numIfEfPS3_EEviPT0_lS6_lPiS6_lS7_lS7_lT1_iilS7_lS7_S6_S7_S5_S5_.private_seg_size, 0
	.set _ZN9rocsolver6v33100L12stein_kernelI19rocblas_complex_numIfEfPS3_EEviPT0_lS6_lPiS6_lS7_lS7_lT1_iilS7_lS7_S6_S7_S5_S5_.uses_vcc, 1
	.set _ZN9rocsolver6v33100L12stein_kernelI19rocblas_complex_numIfEfPS3_EEviPT0_lS6_lPiS6_lS7_lS7_lT1_iilS7_lS7_S6_S7_S5_S5_.uses_flat_scratch, 0
	.set _ZN9rocsolver6v33100L12stein_kernelI19rocblas_complex_numIfEfPS3_EEviPT0_lS6_lPiS6_lS7_lS7_lT1_iilS7_lS7_S6_S7_S5_S5_.has_dyn_sized_stack, 0
	.set _ZN9rocsolver6v33100L12stein_kernelI19rocblas_complex_numIfEfPS3_EEviPT0_lS6_lPiS6_lS7_lS7_lT1_iilS7_lS7_S6_S7_S5_S5_.has_recursion, 0
	.set _ZN9rocsolver6v33100L12stein_kernelI19rocblas_complex_numIfEfPS3_EEviPT0_lS6_lPiS6_lS7_lS7_lT1_iilS7_lS7_S6_S7_S5_S5_.has_indirect_call, 0
	.section	.AMDGPU.csdata,"",@progbits
; Kernel info:
; codeLenInByte = 10948
; TotalNumSgprs: 107
; NumVgprs: 45
; ScratchSize: 0
; MemoryBound: 0
; FloatMode: 240
; IeeeMode: 1
; LDSByteSize: 8 bytes/workgroup (compile time only)
; SGPRBlocks: 0
; VGPRBlocks: 2
; NumSGPRsForWavesPerEU: 107
; NumVGPRsForWavesPerEU: 45
; NamedBarCnt: 0
; Occupancy: 16
; WaveLimiterHint : 1
; COMPUTE_PGM_RSRC2:SCRATCH_EN: 0
; COMPUTE_PGM_RSRC2:USER_SGPR: 2
; COMPUTE_PGM_RSRC2:TRAP_HANDLER: 0
; COMPUTE_PGM_RSRC2:TGID_X_EN: 1
; COMPUTE_PGM_RSRC2:TGID_Y_EN: 1
; COMPUTE_PGM_RSRC2:TGID_Z_EN: 0
; COMPUTE_PGM_RSRC2:TIDIG_COMP_CNT: 0
	.section	.text._ZN9rocsolver6v33100L12stein_kernelI19rocblas_complex_numIdEdPS3_EEviPT0_lS6_lPiS6_lS7_lS7_lT1_iilS7_lS7_S6_S7_S5_S5_,"axG",@progbits,_ZN9rocsolver6v33100L12stein_kernelI19rocblas_complex_numIdEdPS3_EEviPT0_lS6_lPiS6_lS7_lS7_lT1_iilS7_lS7_S6_S7_S5_S5_,comdat
	.globl	_ZN9rocsolver6v33100L12stein_kernelI19rocblas_complex_numIdEdPS3_EEviPT0_lS6_lPiS6_lS7_lS7_lT1_iilS7_lS7_S6_S7_S5_S5_ ; -- Begin function _ZN9rocsolver6v33100L12stein_kernelI19rocblas_complex_numIdEdPS3_EEviPT0_lS6_lPiS6_lS7_lS7_lT1_iilS7_lS7_S6_S7_S5_S5_
	.p2align	8
	.type	_ZN9rocsolver6v33100L12stein_kernelI19rocblas_complex_numIdEdPS3_EEviPT0_lS6_lPiS6_lS7_lS7_lT1_iilS7_lS7_S6_S7_S5_S5_,@function
_ZN9rocsolver6v33100L12stein_kernelI19rocblas_complex_numIdEdPS3_EEviPT0_lS6_lPiS6_lS7_lS7_lT1_iilS7_lS7_S6_S7_S5_S5_: ; @_ZN9rocsolver6v33100L12stein_kernelI19rocblas_complex_numIdEdPS3_EEviPT0_lS6_lPiS6_lS7_lS7_lT1_iilS7_lS7_S6_S7_S5_S5_
; %bb.0:
	s_load_b512 s[36:51], s[0:1], 0x8
	s_bfe_u32 s2, ttmp6, 0x40010
	s_bfe_u32 s3, ttmp6, 0x40004
	s_add_co_i32 s2, s2, 1
	s_getreg_b32 s4, hwreg(HW_REG_IB_STS2, 6, 4)
	s_mul_i32 s2, ttmp7, s2
	s_delay_alu instid0(SALU_CYCLE_1) | instskip(SKIP_2) | instid1(SALU_CYCLE_1)
	s_add_co_i32 s3, s3, s2
	s_cmp_eq_u32 s4, 0
	s_cselect_b32 s4, ttmp7, s3
	s_ashr_i32 s5, s4, 31
	s_delay_alu instid0(SALU_CYCLE_1)
	s_lshl_b64 s[6:7], s[4:5], 2
	s_wait_kmcnt 0x0
	s_add_nc_u64 s[2:3], s[44:45], s[6:7]
	s_load_b32 s44, s[2:3], 0x0
	s_wait_kmcnt 0x0
	s_cmp_lt_i32 s44, 1
	s_cbranch_scc1 .LBB4_260
; %bb.1:
	s_load_b512 s[8:23], s[0:1], 0x70
                                        ; implicit-def: $vgpr55 : SGPR spill to VGPR lane
	s_mov_b64 s[52:53], 0
	v_writelane_b32 v55, s6, 0
	v_writelane_b32 v55, s7, 1
	s_wait_kmcnt 0x0
	s_cmp_eq_u64 s[10:11], 0
	s_cbranch_scc1 .LBB4_3
; %bb.2:
	s_mul_u64 s[2:3], s[12:13], s[4:5]
	s_delay_alu instid0(SALU_CYCLE_1) | instskip(NEXT) | instid1(SALU_CYCLE_1)
	s_lshl_b64 s[2:3], s[2:3], 2
	s_add_nc_u64 s[52:53], s[10:11], s[2:3]
.LBB4_3:
	v_cmp_eq_u32_e64 s2, 0, v0
	s_and_saveexec_b32 s3, s2
; %bb.4:
	v_mov_b32_e32 v1, 0
	ds_store_b32 v1, v1
; %bb.5:
	s_or_b32 exec_lo, exec_lo, s3
	v_cmp_gt_u32_e32 vcc_lo, s44, v0
	s_cmp_lg_u64 s[52:53], 0
	s_cselect_b32 s6, -1, 0
	s_delay_alu instid0(SALU_CYCLE_1) | instskip(NEXT) | instid1(SALU_CYCLE_1)
	s_and_b32 s7, vcc_lo, s6
	s_and_saveexec_b32 s3, s7
	s_cbranch_execz .LBB4_13
; %bb.6:
	v_xad_u32 v1, v0, -1, s44
	v_mov_b32_e32 v2, v0
	s_mov_b32 s10, -1
	s_mov_b32 s7, exec_lo
	s_delay_alu instid0(VALU_DEP_2)
	v_cmpx_lt_u32_e32 0xff, v1
	s_cbranch_execz .LBB4_10
; %bb.7:
	v_dual_lshrrev_b32 v1, 8, v1 :: v_dual_mov_b32 v3, 0
	s_mov_b32 s10, 0
	s_delay_alu instid0(VALU_DEP_1) | instskip(SKIP_1) | instid1(VALU_DEP_2)
	v_add_nc_u32_e32 v6, 1, v1
	v_or_b32_e32 v1, 0x100, v0
	v_and_b32_e32 v7, 0x1fffffe, v6
	s_delay_alu instid0(VALU_DEP_2) | instskip(NEXT) | instid1(VALU_DEP_2)
	v_mov_b64_e32 v[4:5], v[0:1]
	v_mov_b32_e32 v8, v7
.LBB4_8:                                ; =>This Inner Loop Header: Depth=1
	s_delay_alu instid0(VALU_DEP_1) | instskip(SKIP_1) | instid1(VALU_DEP_2)
	v_dual_mov_b32 v2, v4 :: v_dual_add_nc_u32 v8, -2, v8
	v_add_nc_u32_e32 v4, 0x200, v4
	v_lshl_add_u64 v[10:11], v[2:3], 2, s[52:53]
	v_dual_mov_b32 v2, v5 :: v_dual_add_nc_u32 v5, 0x200, v5
	s_delay_alu instid0(VALU_DEP_4) | instskip(NEXT) | instid1(VALU_DEP_2)
	v_cmp_eq_u32_e32 vcc_lo, 0, v8
	v_lshl_add_u64 v[12:13], v[2:3], 2, s[52:53]
	s_clause 0x1
	global_store_b32 v[10:11], v3, off
	global_store_b32 v[12:13], v3, off
	s_or_b32 s10, vcc_lo, s10
	s_wait_xcnt 0x0
	s_and_not1_b32 exec_lo, exec_lo, s10
	s_cbranch_execnz .LBB4_8
; %bb.9:
	s_or_b32 exec_lo, exec_lo, s10
	v_cmp_ne_u32_e32 vcc_lo, v6, v7
	v_lshl_or_b32 v2, v7, 8, v0
	s_or_not1_b32 s10, vcc_lo, exec_lo
.LBB4_10:
	s_or_b32 exec_lo, exec_lo, s7
	s_delay_alu instid0(SALU_CYCLE_1)
	s_and_b32 exec_lo, exec_lo, s10
	s_cbranch_execz .LBB4_13
; %bb.11:
	v_mov_b32_e32 v3, 0
	s_mov_b32 s7, 0
	s_delay_alu instid0(VALU_DEP_1)
	v_lshl_add_u64 v[4:5], v[2:3], 2, s[52:53]
.LBB4_12:                               ; =>This Inner Loop Header: Depth=1
	v_add_nc_u32_e32 v2, 0x100, v2
	global_store_b32 v[4:5], v3, off
	s_wait_xcnt 0x0
	v_add_nc_u64_e32 v[4:5], 0x400, v[4:5]
	v_cmp_le_i32_e32 vcc_lo, s44, v2
	s_or_b32 s7, vcc_lo, s7
	s_delay_alu instid0(SALU_CYCLE_1)
	s_and_not1_b32 exec_lo, exec_lo, s7
	s_cbranch_execnz .LBB4_12
.LBB4_13:
	s_or_b32 exec_lo, exec_lo, s3
	s_load_b256 s[24:31], s[0:1], 0x48
	v_mov_b32_e32 v1, s44
	s_wait_kmcnt 0x0
	s_mul_u64 s[10:11], s[24:25], s[4:5]
	s_delay_alu instid0(SALU_CYCLE_1) | instskip(NEXT) | instid1(SALU_CYCLE_1)
	s_lshl_b64 s[10:11], s[10:11], 2
	s_add_nc_u64 s[12:13], s[50:51], s[10:11]
	global_load_b32 v5, v1, s[12:13] offset:-4 scale_offset
	s_wait_loadcnt 0x0
	v_cmp_gt_i32_e32 vcc_lo, 1, v5
	s_cbranch_vccnz .LBB4_258
; %bb.14:
	v_div_scale_f64 v[2:3], null, s[22:23], s[22:23], 1.0
	v_div_scale_f64 v[10:11], vcc_lo, 1.0, s[22:23], 1.0
	s_mul_u64 s[34:35], s[38:39], s[4:5]
	s_mul_u64 s[38:39], s[42:43], s[4:5]
	;; [unrolled: 1-line block ×4, first 2 shown]
	s_clause 0x1
	s_load_b32 s24, s[0:1], 0x0
	s_load_b64 s[28:29], s[0:1], 0x68
	s_mov_b32 s11, 0
	s_mul_u64 s[8:9], s[8:9], s[4:5]
	s_mov_b32 s45, s11
	s_and_b32 s33, s2, s6
	s_lshl_b64 s[6:7], s[34:35], 3
	s_lshl_b64 s[8:9], s[8:9], 4
	;; [unrolled: 1-line block ×3, first 2 shown]
	s_add_nc_u64 s[36:37], s[36:37], s[6:7]
	s_add_nc_u64 s[6:7], s[30:31], s[8:9]
	;; [unrolled: 1-line block ×3, first 2 shown]
	s_lshl_b64 s[34:35], s[38:39], 3
	v_writelane_b32 v55, s8, 2
	s_add_nc_u64 s[38:39], s[40:41], s[34:35]
	v_lshlrev_b32_e32 v1, 2, v0
	s_lshl_b64 s[48:49], s[48:49], 2
	s_lshl_b64 s[42:43], s[42:43], 3
	v_writelane_b32 v55, s9, 3
	s_add_nc_u64 s[68:69], s[26:27], s[48:49]
	s_wait_kmcnt 0x0
	s_mul_i32 s8, s24, 5
	s_ashr_i32 s25, s24, 31
	s_ashr_i32 s9, s8, 31
	s_mul_u64 s[30:31], s[24:25], s[4:5]
	s_mul_u64 s[8:9], s[8:9], s[4:5]
	v_rcp_f64_e32 v[6:7], v[2:3]
	s_lshl_b64 s[4:5], s[30:31], 2
	v_add_nc_u32_e32 v14, s24, v0
	s_add_nc_u64 s[34:35], s[18:19], s[4:5]
	s_add_nc_u64 s[18:19], s[38:39], 8
	s_mul_i32 s62, s24, 3
	v_writelane_b32 v55, s18, 4
	s_mov_b32 s10, s62
	s_ashr_i32 s27, s28, 31
	s_mov_b32 s26, s28
	s_add_nc_u64 s[40:41], s[46:47], s[42:43]
	v_writelane_b32 v55, s19, 5
	s_add_nc_u64 s[18:19], s[36:37], 8
	s_lshl_b64 s[26:27], s[26:27], 4
	s_ashr_i32 s63, s62, 31
	s_add_nc_u64 s[46:47], s[6:7], s[26:27]
	v_writelane_b32 v55, s18, 6
	s_lshl_b64 s[6:7], s[8:9], 3
	s_lshl_b64 s[26:27], s[62:63], 3
	s_add_nc_u64 s[48:49], s[16:17], s[6:7]
	s_add_nc_u64 s[6:7], s[6:7], s[26:27]
	v_writelane_b32 v55, s19, 7
	s_lshl_b64 s[42:43], s[24:25], 4
	s_add_nc_u64 s[18:19], s[16:17], s[6:7]
	s_sub_nc_u64 s[50:51], 0, s[42:43]
	s_add_nc_u64 s[54:55], s[48:49], s[26:27]
	v_writelane_b32 v55, s10, 8
	v_mov_b64_e32 v[16:17], 1.0
	v_mov_b64_e32 v[18:19], 0
	s_lshl_b64 s[66:67], s[24:25], 3
	s_add_nc_u64 s[56:57], s[54:55], s[50:51]
	v_writelane_b32 v55, s11, 9
	s_add_nc_u64 s[8:9], s[8:9], s[62:63]
	v_cmp_gt_u32_e64 s0, 0x80, v0
	v_cmp_gt_u32_e64 s1, 64, v0
	v_cmp_gt_u32_e64 s3, 32, v0
	v_writelane_b32 v55, s38, 10
	v_cmp_gt_i32_e64 s4, s24, v0
	v_fma_f64 v[8:9], -v[2:3], v[6:7], 1.0
	v_mov_b32_e32 v53, 8
	s_add_nc_u64 s[58:59], s[56:57], s[66:67]
	v_writelane_b32 v55, s39, 11
	s_add_nc_u64 s[26:27], s[8:9], s[24:25]
	s_lshl_b64 s[8:9], s[8:9], 3
	s_add_nc_u64 s[60:61], s[58:59], s[42:43]
	s_lshl_b32 s28, s24, 1
	v_writelane_b32 v55, s68, 12
	s_sub_nc_u64 s[64:65], s[6:7], s[42:43]
	s_lshl_b64 s[62:63], s[26:27], 3
	s_sub_nc_u64 s[70:71], s[8:9], s[66:67]
	s_add_nc_u64 s[72:73], s[6:7], 8
	s_add_nc_u64 s[74:75], s[18:19], 16
	s_mov_b64 s[78:79], 0x41dfffffff800000
	s_add_nc_u64 s[80:81], s[48:49], 8
	s_mov_b32 s82, s11
	s_mov_b32 s25, 0
                                        ; implicit-def: $vgpr32_vgpr33
                                        ; implicit-def: $vgpr22_vgpr23
                                        ; implicit-def: $vgpr24_vgpr25
                                        ; implicit-def: $sgpr85
                                        ; implicit-def: $vgpr20_vgpr21
	v_writelane_b32 v55, s69, 13
	v_dual_lshlrev_b32 v12, 3, v0 :: v_dual_ashrrev_i32 v15, 31, v14
	v_dual_mov_b32 v4, 0 :: v_dual_mov_b32 v52, 1
	s_delay_alu instid0(VALU_DEP_1) | instskip(SKIP_1) | instid1(VALU_DEP_1)
	v_dual_mov_b32 v13, v4 :: v_dual_add_nc_u32 v50, 8, v12
	v_fmac_f64_e32 v[6:7], v[6:7], v[8:9]
	v_fma_f64 v[8:9], -v[2:3], v[6:7], 1.0
	s_delay_alu instid0(VALU_DEP_1) | instskip(NEXT) | instid1(VALU_DEP_1)
	v_fmac_f64_e32 v[6:7], v[6:7], v[8:9]
	v_mul_f64_e32 v[8:9], v[10:11], v[6:7]
	s_delay_alu instid0(VALU_DEP_1) | instskip(SKIP_2) | instid1(VALU_DEP_3)
	v_fma_f64 v[2:3], -v[2:3], v[8:9], v[10:11]
	v_max_num_f64_e64 v[10:11], s[20:21], s[20:21]
	v_sub_nc_u32_e32 v51, v50, v1
	v_div_fmas_f64 v[2:3], v[2:3], v[6:7], v[8:9]
	s_delay_alu instid0(VALU_DEP_3) | instskip(SKIP_2) | instid1(VALU_DEP_4)
	v_max_num_f64_e32 v[6:7], 0, v[10:11]
	v_add_nc_u64_e32 v[10:11], s[48:49], v[12:13]
	v_add_nc_u64_e32 v[12:13], s[18:19], v[12:13]
	v_div_fixup_f64 v[8:9], v[2:3], s[22:23], 1.0
	v_lshl_add_u64 v[2:3], v[14:15], 3, s[48:49]
	s_delay_alu instid0(VALU_DEP_1)
	v_add_nc_u64_e32 v[14:15], 8, v[2:3]
	s_branch .LBB4_17
.LBB4_15:                               ;   in Loop: Header=BB4_17 Depth=1
	v_readlane_b32 s6, v55, 2
	v_readlane_b32 s7, v55, 3
	v_readlane_b32 s38, v55, 10
	v_readlane_b32 s68, v55, 12
	v_readlane_b32 s39, v55, 11
	v_readlane_b32 s69, v55, 13
	global_load_b32 v5, v4, s[6:7] offset:-4
	s_mov_b32 s25, s10
.LBB4_16:                               ;   in Loop: Header=BB4_17 Depth=1
	s_add_co_i32 s82, s82, 1
	s_wait_loadcnt 0x0
	v_cmp_ge_i32_e32 vcc_lo, s82, v5
	s_cbranch_vccnz .LBB4_258
.LBB4_17:                               ; =>This Loop Header: Depth=1
                                        ;     Child Loop BB4_22 Depth 2
                                        ;     Child Loop BB4_27 Depth 2
                                        ;       Child Loop BB4_37 Depth 3
                                        ;       Child Loop BB4_40 Depth 3
	;; [unrolled: 1-line block ×5, first 2 shown]
                                        ;         Child Loop BB4_112 Depth 4
                                        ;         Child Loop BB4_115 Depth 4
	;; [unrolled: 1-line block ×4, first 2 shown]
                                        ;           Child Loop BB4_131 Depth 5
                                        ;         Child Loop BB4_145 Depth 4
                                        ;           Child Loop BB4_146 Depth 5
                                        ;           Child Loop BB4_148 Depth 5
                                        ;         Child Loop BB4_153 Depth 4
                                        ;       Child Loop BB4_196 Depth 3
                                        ;       Child Loop BB4_235 Depth 3
	;; [unrolled: 1-line block ×4, first 2 shown]
	s_cmp_eq_u32 s82, 0
	s_wait_xcnt 0x0
	s_mov_b64 s[6:7], 0
	s_mov_b32 s84, s11
	s_cbranch_scc1 .LBB4_19
; %bb.18:                               ;   in Loop: Header=BB4_17 Depth=1
	v_mov_b32_e32 v2, s82
	s_mov_b32 s83, s11
	s_delay_alu instid0(SALU_CYCLE_1)
	s_mov_b64 s[6:7], s[82:83]
	global_load_b32 v2, v2, s[68:69] offset:-4 scale_offset
	s_wait_loadcnt 0x0
	v_readfirstlane_b32 s84, v2
.LBB4_19:                               ;   in Loop: Header=BB4_17 Depth=1
	s_lshl_b64 s[6:7], s[6:7], 2
	s_delay_alu instid0(VALU_DEP_1)
	s_not_b32 s5, s84
	s_add_nc_u64 s[6:7], s[68:69], s[6:7]
	global_load_b32 v2, v4, s[6:7]
	s_wait_loadcnt 0x0
	v_readfirstlane_b32 s86, v2
	v_subrev_nc_u32_e32 v54, s84, v2
	s_add_co_i32 s88, s5, s86
	s_delay_alu instid0(SALU_CYCLE_1) | instskip(SKIP_1) | instid1(SALU_CYCLE_1)
	s_cmp_lt_i32 s88, 1
	s_cselect_b32 s45, -1, 0
	s_and_b32 vcc_lo, exec_lo, s45
	s_cbranch_vccnz .LBB4_24
; %bb.20:                               ;   in Loop: Header=BB4_17 Depth=1
	v_dual_mov_b32 v2, s84 :: v_dual_mov_b32 v24, s86
	s_add_co_i32 s5, s86, -2
	s_clause 0x1
	global_load_b64 v[20:21], v2, s[36:37] scale_offset
	global_load_b64 v[2:3], v2, s[38:39] scale_offset
	s_clause 0x1
	global_load_b64 v[22:23], v24, s[36:37] offset:-8 scale_offset
	global_load_b64 v[24:25], v24, s[38:39] offset:-16 scale_offset
	s_cmp_ge_i32 s84, s5
	s_wait_loadcnt 0x2
	v_add_f64_e64 v[20:21], |v[20:21]|, |v[2:3]|
	s_wait_loadcnt 0x0
	v_add_f64_e64 v[22:23], |v[22:23]|, |v[24:25]|
	s_delay_alu instid0(VALU_DEP_1)
	v_cmp_lt_f64_e32 vcc_lo, v[20:21], v[22:23]
	v_dual_cndmask_b32 v21, v21, v23 :: v_dual_cndmask_b32 v20, v20, v22
	s_cbranch_scc1 .LBB4_23
; %bb.21:                               ;   in Loop: Header=BB4_17 Depth=1
	v_readlane_b32 s6, v55, 4
	v_readlane_b32 s18, v55, 6
	;; [unrolled: 1-line block ×4, first 2 shown]
	s_ashr_i32 s85, s84, 31
	s_mov_b32 s10, s84
	s_lshl_b64 s[8:9], s[84:85], 3
	s_delay_alu instid0(SALU_CYCLE_1)
	s_add_nc_u64 s[6:7], s[6:7], s[8:9]
	s_add_nc_u64 s[8:9], s[18:19], s[8:9]
.LBB4_22:                               ;   Parent Loop BB4_17 Depth=1
                                        ; =>  This Inner Loop Header: Depth=2
	global_load_b64 v[22:23], v4, s[8:9]
	s_add_co_i32 s10, s10, 1
	s_wait_xcnt 0x0
	s_add_nc_u64 s[8:9], s[8:9], 8
	s_cmp_lt_i32 s10, s5
	s_wait_loadcnt 0x0
	v_add_f64_e64 v[22:23], |v[2:3]|, |v[22:23]|
	global_load_b64 v[2:3], v4, s[6:7]
	s_wait_xcnt 0x0
	s_add_nc_u64 s[6:7], s[6:7], 8
	s_wait_loadcnt 0x0
	v_add_f64_e64 v[22:23], v[22:23], |v[2:3]|
	s_delay_alu instid0(VALU_DEP_1)
	v_cmp_lt_f64_e32 vcc_lo, v[20:21], v[22:23]
	v_dual_cndmask_b32 v21, v21, v23 :: v_dual_cndmask_b32 v20, v20, v22
	s_cbranch_scc1 .LBB4_22
.LBB4_23:                               ;   in Loop: Header=BB4_17 Depth=1
	v_cvt_f64_u32_e32 v[2:3], v54
	s_mov_b64 s[6:7], 0x3fb999999999999a
	s_mov_b32 s85, s25
	s_delay_alu instid0(VALU_DEP_1) | instskip(SKIP_2) | instid1(VALU_DEP_2)
	v_div_scale_f64 v[22:23], null, v[2:3], v[2:3], s[6:7]
	v_div_scale_f64 v[28:29], vcc_lo, s[6:7], v[2:3], s[6:7]
	s_wait_xcnt 0x0
	v_rcp_f64_e32 v[24:25], v[22:23]
	v_nop
	s_delay_alu instid0(TRANS32_DEP_1) | instskip(NEXT) | instid1(VALU_DEP_1)
	v_fma_f64 v[26:27], -v[22:23], v[24:25], 1.0
	v_fmac_f64_e32 v[24:25], v[24:25], v[26:27]
	s_delay_alu instid0(VALU_DEP_1) | instskip(NEXT) | instid1(VALU_DEP_1)
	v_fma_f64 v[26:27], -v[22:23], v[24:25], 1.0
	v_fmac_f64_e32 v[24:25], v[24:25], v[26:27]
	s_delay_alu instid0(VALU_DEP_1) | instskip(NEXT) | instid1(VALU_DEP_1)
	v_mul_f64_e32 v[26:27], v[28:29], v[24:25]
	v_fma_f64 v[22:23], -v[22:23], v[26:27], v[28:29]
	s_delay_alu instid0(VALU_DEP_1) | instskip(NEXT) | instid1(VALU_DEP_1)
	v_div_fmas_f64 v[22:23], v[22:23], v[24:25], v[26:27]
	v_div_fixup_f64 v[2:3], v[22:23], v[2:3], s[6:7]
	s_delay_alu instid0(VALU_DEP_1) | instskip(SKIP_2) | instid1(SALU_CYCLE_1)
	v_cmp_gt_f64_e32 vcc_lo, 0x10000000, v[2:3]
	s_and_b32 s5, vcc_lo, exec_lo
	s_cselect_b32 s5, 0x100, 0
	v_ldexp_f64 v[2:3], v[2:3], s5
	s_cselect_b32 s5, 0xffffff80, 0
	s_delay_alu instid0(VALU_DEP_1) | instskip(SKIP_1) | instid1(TRANS32_DEP_1)
	v_rsq_f64_e32 v[22:23], v[2:3]
	v_cmp_class_f64_e64 vcc_lo, v[2:3], 0x260
	v_mul_f64_e32 v[24:25], v[2:3], v[22:23]
	v_mul_f64_e32 v[22:23], 0.5, v[22:23]
	s_delay_alu instid0(VALU_DEP_1) | instskip(NEXT) | instid1(VALU_DEP_1)
	v_fma_f64 v[26:27], -v[22:23], v[24:25], 0.5
	v_fmac_f64_e32 v[24:25], v[24:25], v[26:27]
	v_fmac_f64_e32 v[22:23], v[22:23], v[26:27]
	s_delay_alu instid0(VALU_DEP_2) | instskip(NEXT) | instid1(VALU_DEP_1)
	v_fma_f64 v[26:27], -v[24:25], v[24:25], v[2:3]
	v_fmac_f64_e32 v[24:25], v[26:27], v[22:23]
	s_delay_alu instid0(VALU_DEP_1) | instskip(NEXT) | instid1(VALU_DEP_1)
	v_fma_f64 v[26:27], -v[24:25], v[24:25], v[2:3]
	v_fmac_f64_e32 v[24:25], v[26:27], v[22:23]
	s_delay_alu instid0(VALU_DEP_1) | instskip(SKIP_1) | instid1(VALU_DEP_2)
	v_ldexp_f64 v[22:23], v[24:25], s5
	v_mul_f64_e32 v[24:25], 0x3f50624dd2f1a9fc, v[20:21]
	v_dual_cndmask_b32 v23, v23, v3 :: v_dual_cndmask_b32 v22, v22, v2
.LBB4_24:                               ;   in Loop: Header=BB4_17 Depth=1
	s_cmp_ge_i32 s25, s44
	s_cbranch_scc1 .LBB4_16
; %bb.25:                               ;   in Loop: Header=BB4_17 Depth=1
	v_cvt_f64_u32_e32 v[2:3], v54
	v_readlane_b32 s18, v55, 8
	s_ashr_i32 s87, s86, 31
	v_readlane_b32 s19, v55, 9
	s_lshl_b64 s[8:9], s[86:87], 3
	s_mov_b32 s89, s11
	s_add_co_i32 s18, s88, s18
	s_add_nc_u64 s[90:91], s[36:37], s[8:9]
	s_ashr_i32 s19, s18, 31
	v_cmp_ge_i32_e64 s5, s88, v0
	s_lshl_b64 s[8:9], s[18:19], 3
	s_wait_xcnt 0x0
	v_cmp_gt_i32_e64 s6, s88, v0
	s_add_nc_u64 s[92:93], s[48:49], s[8:9]
	s_lshl_b64 s[8:9], s[88:89], 2
	v_cmp_lt_u32_e64 s7, v0, v54
	s_add_nc_u64 s[94:95], s[34:35], s[8:9]
	s_lshl_b64 s[8:9], s[88:89], 3
	s_add_co_i32 s83, s88, -1
	s_add_nc_u64 s[96:97], s[54:55], s[8:9]
	v_cmp_lt_u32_e64 s8, 2, v54
	s_sub_co_i32 s87, s86, s84
	s_mov_b32 s104, 0
	s_sub_co_i32 s89, 0, s84
	s_mul_i32 vcc_hi, s29, s25
	s_mov_b32 s98, s25
	v_dual_mul_f64 v[26:27], v[20:21], v[2:3] :: v_dual_add_nc_u32 v2, s84, v0
	s_delay_alu instid0(VALU_DEP_1) | instskip(NEXT) | instid1(VALU_DEP_1)
	v_ashrrev_i32_e32 v3, 31, v2
	v_lshlrev_b64_e32 v[2:3], 3, v[2:3]
	s_delay_alu instid0(VALU_DEP_1)
	v_add_nc_u64_e32 v[28:29], s[36:37], v[2:3]
	v_add_nc_u64_e32 v[30:31], s[38:39], v[2:3]
	s_branch .LBB4_27
.LBB4_26:                               ;   in Loop: Header=BB4_27 Depth=2
	s_mov_b32 s10, s98
                                        ; implicit-def: $sgpr104
                                        ; implicit-def: $vcc_hi
	s_and_b32 vcc_lo, exec_lo, s9
	s_cbranch_vccnz .LBB4_15
.LBB4_27:                               ;   Parent Loop BB4_17 Depth=1
                                        ; =>  This Loop Header: Depth=2
                                        ;       Child Loop BB4_37 Depth 3
                                        ;       Child Loop BB4_40 Depth 3
	;; [unrolled: 1-line block ×5, first 2 shown]
                                        ;         Child Loop BB4_112 Depth 4
                                        ;         Child Loop BB4_115 Depth 4
	;; [unrolled: 1-line block ×4, first 2 shown]
                                        ;           Child Loop BB4_131 Depth 5
                                        ;         Child Loop BB4_145 Depth 4
                                        ;           Child Loop BB4_146 Depth 5
                                        ;           Child Loop BB4_148 Depth 5
                                        ;         Child Loop BB4_153 Depth 4
                                        ;       Child Loop BB4_196 Depth 3
                                        ;       Child Loop BB4_235 Depth 3
	;; [unrolled: 1-line block ×4, first 2 shown]
	v_mov_b32_e32 v2, s98
	s_mov_b32 s9, -1
	global_load_b32 v2, v2, s[12:13] scale_offset
	s_wait_loadcnt 0x0
	v_add_nc_u32_e32 v2, -1, v2
	s_delay_alu instid0(VALU_DEP_1)
	v_cmp_ne_u32_e32 vcc_lo, s82, v2
	s_cbranch_vccnz .LBB4_26
; %bb.28:                               ;   in Loop: Header=BB4_27 Depth=2
	s_ashr_i32 s99, s98, 31
	s_and_b32 vcc_lo, exec_lo, s45
	s_lshl_b64 s[18:19], s[98:99], 3
	s_delay_alu instid0(SALU_CYCLE_1)
	s_add_nc_u64 s[18:19], s[40:41], s[18:19]
	global_load_b64 v[2:3], v4, s[18:19]
	s_cbranch_vccz .LBB4_32
; %bb.29:                               ;   in Loop: Header=BB4_27 Depth=2
	s_wait_xcnt 0x0
	s_and_saveexec_b32 s9, s2
	s_cbranch_execz .LBB4_31
; %bb.30:                               ;   in Loop: Header=BB4_27 Depth=2
	global_store_b64 v4, v[16:17], s[48:49]
.LBB4_31:                               ;   in Loop: Header=BB4_27 Depth=2
	s_wait_xcnt 0x0
	s_or_b32 exec_lo, exec_lo, s9
	s_wait_storecnt 0x0
	s_wait_loadcnt_dscnt 0x0
	s_barrier_signal -1
	s_mov_b32 s9, 0
	s_barrier_wait -1
.LBB4_32:                               ;   in Loop: Header=BB4_27 Depth=2
	s_and_b32 vcc_lo, exec_lo, s9
	s_cbranch_vccz .LBB4_67
; %bb.33:                               ;   in Loop: Header=BB4_27 Depth=2
	s_cmp_lg_u32 s104, 0
	s_cselect_b32 s99, -1, 0
	s_cmp_eq_u32 s104, 0
	s_cbranch_scc1 .LBB4_35
; %bb.34:                               ;   in Loop: Header=BB4_27 Depth=2
	s_wait_loadcnt 0x0
	v_mul_f64_e32 v[34:35], s[20:21], v[2:3]
	v_add_f64_e64 v[38:39], v[2:3], -v[32:33]
	s_delay_alu instid0(VALU_DEP_2) | instskip(SKIP_1) | instid1(VALU_DEP_2)
	v_mul_f64_e64 v[36:37], 0x40240000, |v[34:35]|
	v_fma_f64 v[34:35], 0x40240000, |v[34:35]|, v[32:33]
	v_cmp_lt_f64_e32 vcc_lo, v[38:39], v[36:37]
	s_delay_alu instid0(VALU_DEP_2)
	v_dual_cndmask_b32 v3, v3, v35 :: v_dual_cndmask_b32 v2, v2, v34
.LBB4_35:                               ;   in Loop: Header=BB4_27 Depth=2
	s_wait_xcnt 0x0
	s_and_saveexec_b32 s9, s5
	s_cbranch_execz .LBB4_38
; %bb.36:                               ;   in Loop: Header=BB4_27 Depth=2
	s_mul_i32 s10, s82, s44
	s_delay_alu instid0(SALU_CYCLE_1) | instskip(NEXT) | instid1(SALU_CYCLE_1)
	s_add_co_i32 s10, s98, s10
	v_lshl_or_b32 v5, s10, 8, v0
	s_mov_b32 s10, 0
	s_delay_alu instid0(VALU_DEP_1) | instskip(SKIP_1) | instid1(VALU_DEP_2)
	v_add_nc_u32_e32 v34, 1, v5
	v_sub_nc_u32_e32 v37, 0x7ffffffe, v5
	v_mul_hi_i32 v35, 0x40000001, v34
	s_delay_alu instid0(VALU_DEP_2) | instskip(NEXT) | instid1(VALU_DEP_2)
	v_cmp_gt_u32_e32 vcc_lo, 0x7fffff07, v37
	v_dual_lshrrev_b32 v36, 31, v35 :: v_dual_ashrrev_i32 v35, 29, v35
	s_delay_alu instid0(VALU_DEP_1) | instskip(SKIP_1) | instid1(VALU_DEP_1)
	v_add_nc_u32_e32 v35, v35, v36
	v_sub_nc_u32_e32 v36, 0xf7, v5
	v_max_u32_e32 v36, 1, v36
	s_delay_alu instid0(VALU_DEP_1) | instskip(SKIP_1) | instid1(VALU_DEP_2)
	v_cndmask_b32_e32 v36, v36, v37, vcc_lo
	v_cmp_ne_u32_e32 vcc_lo, 0x7ffffffe, v5
	v_dual_mov_b32 v5, v0 :: v_dual_cndmask_b32 v36, 1, v36
	v_mul_lo_u32 v35, 0x7fffffff, v35
	s_delay_alu instid0(VALU_DEP_1) | instskip(SKIP_1) | instid1(VALU_DEP_2)
	v_sub_nc_u32_e32 v37, v34, v35
	v_mov_b64_e32 v[34:35], v[10:11]
	v_max_i32_e32 v37, 1, v37
.LBB4_37:                               ;   Parent Loop BB4_17 Depth=1
                                        ;     Parent Loop BB4_27 Depth=2
                                        ; =>    This Inner Loop Header: Depth=3
	s_delay_alu instid0(VALU_DEP_1) | instskip(SKIP_2) | instid1(VALU_DEP_3)
	v_mul_hi_i32 v38, 0x5e4789c9, v37
	v_mul_hi_i32 v39, 0x4f7a09cd, v36
	v_add_nc_u32_e32 v5, 0x100, v5
	v_dual_lshrrev_b32 v40, 31, v38 :: v_dual_ashrrev_i32 v38, 14, v38
	s_delay_alu instid0(VALU_DEP_3) | instskip(NEXT) | instid1(VALU_DEP_1)
	v_dual_lshrrev_b32 v41, 31, v39 :: v_dual_ashrrev_i32 v39, 14, v39
	v_dual_add_nc_u32 v38, v38, v40 :: v_dual_add_nc_u32 v39, v39, v41
	s_delay_alu instid0(VALU_DEP_1) | instskip(SKIP_1) | instid1(VALU_DEP_3)
	v_mul_i32_i24_e32 v40, 0xadc8, v38
	v_mul_i32_i24_e32 v38, 0xfffff2b9, v38
	;; [unrolled: 1-line block ×4, first 2 shown]
	s_delay_alu instid0(VALU_DEP_2) | instskip(NEXT) | instid1(VALU_DEP_1)
	v_dual_sub_nc_u32 v37, v37, v40 :: v_dual_sub_nc_u32 v36, v36, v41
	v_mad_u32 v37, 0xbc8f, v37, v38
	s_delay_alu instid0(VALU_DEP_2) | instskip(NEXT) | instid1(VALU_DEP_1)
	v_mad_u32 v36, 0x9ef4, v36, v39
	v_dual_ashrrev_i32 v38, 31, v37 :: v_dual_ashrrev_i32 v39, 31, v36
	s_delay_alu instid0(VALU_DEP_1) | instskip(NEXT) | instid1(VALU_DEP_2)
	v_and_b32_e32 v38, 0x7fffffff, v38
	v_and_b32_e32 v39, 0x7fffff07, v39
	s_delay_alu instid0(VALU_DEP_1) | instskip(NEXT) | instid1(VALU_DEP_1)
	v_dual_add_nc_u32 v37, v38, v37 :: v_dual_add_nc_u32 v36, v39, v36
	v_sub_nc_u32_e32 v38, v37, v36
	s_delay_alu instid0(VALU_DEP_1) | instskip(NEXT) | instid1(VALU_DEP_1)
	v_ashrrev_i32_e32 v39, 31, v38
	v_and_b32_e32 v39, 0x7fffffff, v39
	s_delay_alu instid0(VALU_DEP_1) | instskip(NEXT) | instid1(VALU_DEP_1)
	v_add_nc_u32_e32 v38, v39, v38
	v_cvt_f64_i32_e32 v[38:39], v38
	s_delay_alu instid0(VALU_DEP_1) | instskip(SKIP_1) | instid1(VALU_DEP_2)
	v_div_scale_f64 v[40:41], null, s[78:79], s[78:79], v[38:39]
	v_div_scale_f64 v[46:47], vcc_lo, v[38:39], s[78:79], v[38:39]
	v_rcp_f64_e32 v[42:43], v[40:41]
	v_nop
	s_delay_alu instid0(TRANS32_DEP_1) | instskip(NEXT) | instid1(VALU_DEP_1)
	v_fma_f64 v[44:45], -v[40:41], v[42:43], 1.0
	v_fmac_f64_e32 v[42:43], v[42:43], v[44:45]
	s_delay_alu instid0(VALU_DEP_1) | instskip(NEXT) | instid1(VALU_DEP_1)
	v_fma_f64 v[44:45], -v[40:41], v[42:43], 1.0
	v_fmac_f64_e32 v[42:43], v[42:43], v[44:45]
	s_delay_alu instid0(VALU_DEP_1) | instskip(NEXT) | instid1(VALU_DEP_1)
	v_mul_f64_e32 v[44:45], v[46:47], v[42:43]
	v_fma_f64 v[40:41], -v[40:41], v[44:45], v[46:47]
	s_delay_alu instid0(VALU_DEP_1) | instskip(SKIP_2) | instid1(VALU_DEP_2)
	v_div_fmas_f64 v[40:41], v[40:41], v[42:43], v[44:45]
	v_cmp_lt_i32_e32 vcc_lo, s88, v5
	s_or_b32 s10, vcc_lo, s10
	v_div_fixup_f64 v[38:39], v[40:41], s[78:79], v[38:39]
	global_store_b64 v[34:35], v[38:39], off
	s_wait_xcnt 0x0
	v_add_nc_u64_e32 v[34:35], 0x800, v[34:35]
	s_and_not1_b32 exec_lo, exec_lo, s10
	s_cbranch_execnz .LBB4_37
.LBB4_38:                               ;   in Loop: Header=BB4_27 Depth=2
	s_or_b32 exec_lo, exec_lo, s9
	s_and_saveexec_b32 s9, s6
	s_cbranch_execz .LBB4_41
; %bb.39:                               ;   in Loop: Header=BB4_27 Depth=2
	v_mov_b64_e32 v[34:35], v[30:31]
	v_mov_b64_e32 v[36:37], v[28:29]
	;; [unrolled: 1-line block ×4, first 2 shown]
	v_mov_b32_e32 v5, v0
	s_mov_b32 s10, 0
.LBB4_40:                               ;   Parent Loop BB4_17 Depth=1
                                        ;     Parent Loop BB4_27 Depth=2
                                        ; =>    This Inner Loop Header: Depth=3
	global_load_b64 v[42:43], v[36:37], off
	v_add_nc_u32_e32 v44, s28, v5
	v_add_nc_u32_e32 v5, 0x100, v5
	s_wait_xcnt 0x0
	v_add_nc_u64_e32 v[36:37], 0x800, v[36:37]
	s_delay_alu instid0(VALU_DEP_2)
	v_cmp_le_i32_e32 vcc_lo, s88, v5
	s_or_b32 s10, vcc_lo, s10
	s_wait_loadcnt 0x0
	global_store_b64 v[40:41], v[42:43], off
	global_load_b64 v[42:43], v[34:35], off
	v_add_nc_u64_e32 v[40:41], 0x800, v[40:41]
	s_wait_xcnt 0x0
	v_add_nc_u64_e32 v[34:35], 0x800, v[34:35]
	s_wait_loadcnt 0x0
	global_store_b64 v44, v[42:43], s[48:49] scale_offset
	global_store_b64 v[38:39], v[42:43], off
	s_wait_xcnt 0x0
	v_add_nc_u64_e32 v[38:39], 0x800, v[38:39]
	s_and_not1_b32 exec_lo, exec_lo, s10
	s_cbranch_execnz .LBB4_40
.LBB4_41:                               ;   in Loop: Header=BB4_27 Depth=2
	s_or_b32 exec_lo, exec_lo, s9
	s_and_saveexec_b32 s9, s2
	s_cbranch_execz .LBB4_43
; %bb.42:                               ;   in Loop: Header=BB4_27 Depth=2
	global_load_b64 v[34:35], v4, s[90:91] offset:-8
	s_wait_loadcnt 0x0
	global_store_b64 v4, v[34:35], s[92:93]
.LBB4_43:                               ;   in Loop: Header=BB4_27 Depth=2
	s_wait_xcnt 0x0
	s_or_b32 exec_lo, exec_lo, s9
	s_wait_storecnt 0x0
	s_wait_loadcnt_dscnt 0x0
	s_barrier_signal -1
	s_barrier_wait -1
	s_and_saveexec_b32 s9, s2
	s_cbranch_execz .LBB4_71
; %bb.44:                               ;   in Loop: Header=BB4_27 Depth=2
	global_load_b64 v[34:35], v4, s[54:55]
	s_mov_b32 s10, 1
	s_mov_b64 s[100:101], s[72:73]
	s_mov_b64 s[102:103], s[70:71]
	;; [unrolled: 1-line block ×5, first 2 shown]
	global_store_b32 v4, v4, s[94:95]
	s_wait_loadcnt 0x0
	v_add_f64_e64 v[34:35], v[34:35], -v[2:3]
	s_clause 0x1
	global_store_b64 v4, v[34:35], s[54:55]
	global_load_b64 v[36:37], v4, s[56:57] offset:8
	s_wait_loadcnt 0x0
	s_wait_xcnt 0x1
	v_add_f64_e64 v[34:35], |v[34:35]|, |v[36:37]|
	s_branch .LBB4_46
.LBB4_45:                               ;   in Loop: Header=BB4_46 Depth=3
	s_add_co_i32 s10, s10, 1
	s_add_nc_u64 s[66:67], s[66:67], 8
	s_add_nc_u64 s[68:69], s[68:69], 8
	s_wait_xcnt 0x0
	s_add_nc_u64 s[18:19], s[18:19], 4
	s_add_nc_u64 s[102:103], s[102:103], 8
	s_cmp_eq_u32 s87, s10
	s_add_nc_u64 s[100:101], s[100:101], 8
	s_cbranch_scc1 .LBB4_68
.LBB4_46:                               ;   Parent Loop BB4_17 Depth=1
                                        ;     Parent Loop BB4_27 Depth=2
                                        ; =>    This Inner Loop Header: Depth=3
	s_add_nc_u64 s[76:77], s[16:17], s[100:101]
	s_add_nc_u64 s[30:31], s[16:17], s[102:103]
	global_load_b64 v[36:37], v4, s[76:77]
	s_add_co_i32 s27, s10, -1
	s_add_nc_u64 s[42:43], s[16:17], s[66:67]
	s_cmp_lt_u32 s27, s83
	s_cselect_b32 s26, -1, 0
	s_cmp_ge_u32 s27, s83
	s_wait_loadcnt 0x0
	v_add_f64_e64 v[40:41], v[36:37], -v[2:3]
	s_clause 0x1
	global_store_b64 v4, v[40:41], s[76:77]
	global_load_b64 v[42:43], v4, s[30:31]
	s_wait_loadcnt 0x0
	v_add_f64_e64 v[36:37], |v[40:41]|, |v[42:43]|
	s_cbranch_scc1 .LBB4_48
; %bb.47:                               ;   in Loop: Header=BB4_46 Depth=3
	global_load_b64 v[38:39], v4, s[42:43] offset:16
	s_wait_loadcnt 0x0
	v_add_f64_e64 v[36:37], v[36:37], |v[38:39]|
.LBB4_48:                               ;   in Loop: Header=BB4_46 Depth=3
	global_load_b64 v[46:47], v4, s[76:77] offset:-8
	s_wait_loadcnt 0x0
	v_cmp_eq_f64_e32 vcc_lo, 0, v[46:47]
	s_cbranch_vccnz .LBB4_59
; %bb.49:                               ;   in Loop: Header=BB4_46 Depth=3
	v_and_b32_e32 v39, 0x7fffffff, v47
	v_mov_b32_e32 v38, v46
	s_delay_alu instid0(VALU_DEP_1) | instskip(SKIP_1) | instid1(VALU_DEP_2)
	v_div_scale_f64 v[44:45], null, v[34:35], v[34:35], v[38:39]
	v_div_scale_f64 v[38:39], vcc_lo, v[38:39], v[34:35], v[38:39]
	v_rcp_f64_e32 v[48:49], v[44:45]
	v_nop
	s_delay_alu instid0(TRANS32_DEP_1) | instskip(NEXT) | instid1(VALU_DEP_1)
	v_fma_f64 v[56:57], -v[44:45], v[48:49], 1.0
	v_fmac_f64_e32 v[48:49], v[48:49], v[56:57]
	s_delay_alu instid0(VALU_DEP_1) | instskip(NEXT) | instid1(VALU_DEP_1)
	v_fma_f64 v[56:57], -v[44:45], v[48:49], 1.0
	v_fmac_f64_e32 v[48:49], v[48:49], v[56:57]
	s_delay_alu instid0(VALU_DEP_1) | instskip(NEXT) | instid1(VALU_DEP_1)
	v_mul_f64_e32 v[56:57], v[38:39], v[48:49]
	v_fma_f64 v[38:39], -v[44:45], v[56:57], v[38:39]
	s_delay_alu instid0(VALU_DEP_1) | instskip(NEXT) | instid1(VALU_DEP_1)
	v_div_fmas_f64 v[38:39], v[38:39], v[48:49], v[56:57]
	v_div_fixup_f64 v[38:39], v[38:39], v[34:35], |v[46:47]|
	v_cmp_neq_f64_e32 vcc_lo, 0, v[42:43]
	s_cbranch_vccz .LBB4_60
.LBB4_50:                               ;   in Loop: Header=BB4_46 Depth=3
	v_and_b32_e32 v45, 0x7fffffff, v43
	v_mov_b32_e32 v44, v42
	s_mov_b32 s27, -1
	s_delay_alu instid0(VALU_DEP_1) | instskip(SKIP_1) | instid1(VALU_DEP_2)
	v_div_scale_f64 v[48:49], null, v[36:37], v[36:37], v[44:45]
	v_div_scale_f64 v[44:45], vcc_lo, v[44:45], v[36:37], v[44:45]
	v_rcp_f64_e32 v[56:57], v[48:49]
	v_nop
	s_delay_alu instid0(TRANS32_DEP_1) | instskip(NEXT) | instid1(VALU_DEP_1)
	v_fma_f64 v[58:59], -v[48:49], v[56:57], 1.0
	v_fmac_f64_e32 v[56:57], v[56:57], v[58:59]
	s_delay_alu instid0(VALU_DEP_1) | instskip(NEXT) | instid1(VALU_DEP_1)
	v_fma_f64 v[58:59], -v[48:49], v[56:57], 1.0
	v_fmac_f64_e32 v[56:57], v[56:57], v[58:59]
	s_delay_alu instid0(VALU_DEP_1) | instskip(NEXT) | instid1(VALU_DEP_1)
	v_mul_f64_e32 v[58:59], v[44:45], v[56:57]
	v_fma_f64 v[44:45], -v[48:49], v[58:59], v[44:45]
	s_delay_alu instid0(VALU_DEP_1) | instskip(NEXT) | instid1(VALU_DEP_1)
	v_div_fmas_f64 v[44:45], v[44:45], v[56:57], v[58:59]
	v_div_fixup_f64 v[44:45], v[44:45], v[36:37], |v[42:43]|
	s_delay_alu instid0(VALU_DEP_1)
	v_cmp_nle_f64_e32 vcc_lo, v[44:45], v[38:39]
	s_cbranch_vccnz .LBB4_54
; %bb.51:                               ;   in Loop: Header=BB4_46 Depth=3
	v_div_scale_f64 v[48:49], null, v[46:47], v[46:47], v[42:43]
	v_div_scale_f64 v[60:61], vcc_lo, v[42:43], v[46:47], v[42:43]
	s_delay_alu instid0(VALU_DEP_2) | instskip(SKIP_1) | instid1(TRANS32_DEP_1)
	v_rcp_f64_e32 v[56:57], v[48:49]
	v_nop
	v_fma_f64 v[58:59], -v[48:49], v[56:57], 1.0
	s_delay_alu instid0(VALU_DEP_1) | instskip(NEXT) | instid1(VALU_DEP_1)
	v_fmac_f64_e32 v[56:57], v[56:57], v[58:59]
	v_fma_f64 v[58:59], -v[48:49], v[56:57], 1.0
	s_delay_alu instid0(VALU_DEP_1) | instskip(NEXT) | instid1(VALU_DEP_1)
	v_fmac_f64_e32 v[56:57], v[56:57], v[58:59]
	v_mul_f64_e32 v[58:59], v[60:61], v[56:57]
	s_delay_alu instid0(VALU_DEP_1) | instskip(NEXT) | instid1(VALU_DEP_1)
	v_fma_f64 v[48:49], -v[48:49], v[58:59], v[60:61]
	v_div_fmas_f64 v[48:49], v[48:49], v[56:57], v[58:59]
	s_and_not1_b32 vcc_lo, exec_lo, s26
	s_delay_alu instid0(VALU_DEP_1)
	v_div_fixup_f64 v[48:49], v[48:49], v[46:47], v[42:43]
	s_clause 0x2
	global_store_b64 v4, v[48:49], s[30:31]
	global_load_b64 v[56:57], v4, s[76:77]
	global_load_b64 v[58:59], v4, s[42:43] offset:8
	s_wait_loadcnt 0x0
	s_wait_xcnt 0x2
	v_fma_f64 v[48:49], -v[48:49], v[58:59], v[56:57]
	s_clause 0x1
	global_store_b32 v4, v4, s[18:19]
	global_store_b64 v4, v[48:49], s[76:77]
	s_cbranch_vccnz .LBB4_53
; %bb.52:                               ;   in Loop: Header=BB4_46 Depth=3
	s_add_nc_u64 s[38:39], s[16:17], s[68:69]
	global_store_b64 v4, v[18:19], s[38:39]
.LBB4_53:                               ;   in Loop: Header=BB4_46 Depth=3
	s_mov_b32 s27, 0
.LBB4_54:                               ;   in Loop: Header=BB4_46 Depth=3
	s_wait_xcnt 0x0
	v_mov_b64_e32 v[48:49], v[36:37]
	s_and_not1_b32 vcc_lo, exec_lo, s27
	s_cbranch_vccnz .LBB4_58
; %bb.55:                               ;   in Loop: Header=BB4_46 Depth=3
	v_div_scale_f64 v[48:49], null, v[42:43], v[42:43], v[46:47]
	s_clause 0x1
	global_store_b64 v4, v[42:43], s[76:77] offset:-8
	global_load_b64 v[56:57], v4, s[42:43] offset:8
	v_rcp_f64_e32 v[58:59], v[48:49]
	v_nop
	s_delay_alu instid0(TRANS32_DEP_1) | instskip(NEXT) | instid1(VALU_DEP_1)
	v_fma_f64 v[60:61], -v[48:49], v[58:59], 1.0
	v_fmac_f64_e32 v[58:59], v[58:59], v[60:61]
	s_delay_alu instid0(VALU_DEP_1) | instskip(NEXT) | instid1(VALU_DEP_1)
	v_fma_f64 v[60:61], -v[48:49], v[58:59], 1.0
	v_fmac_f64_e32 v[58:59], v[58:59], v[60:61]
	v_div_scale_f64 v[60:61], vcc_lo, v[46:47], v[42:43], v[46:47]
	s_delay_alu instid0(VALU_DEP_1) | instskip(NEXT) | instid1(VALU_DEP_1)
	v_mul_f64_e32 v[62:63], v[60:61], v[58:59]
	v_fma_f64 v[48:49], -v[48:49], v[62:63], v[60:61]
	s_delay_alu instid0(VALU_DEP_1) | instskip(SKIP_2) | instid1(VALU_DEP_1)
	v_div_fmas_f64 v[48:49], v[48:49], v[58:59], v[62:63]
	s_and_not1_b32 vcc_lo, exec_lo, s26
	s_wait_xcnt 0x1
	v_div_fixup_f64 v[42:43], v[48:49], v[42:43], v[46:47]
	s_wait_loadcnt 0x0
	s_delay_alu instid0(VALU_DEP_1)
	v_fma_f64 v[46:47], -v[40:41], v[42:43], v[56:57]
	s_clause 0x1
	global_store_b32 v4, v52, s[18:19]
	global_store_b64 v4, v[46:47], s[76:77]
	s_cbranch_vccnz .LBB4_57
; %bb.56:                               ;   in Loop: Header=BB4_46 Depth=3
	global_load_b64 v[46:47], v4, s[42:43] offset:16
	s_add_nc_u64 s[38:39], s[16:17], s[68:69]
	s_wait_loadcnt 0x0
	v_mul_f64_e64 v[48:49], v[46:47], -v[42:43]
	s_clause 0x1
	global_store_b64 v4, v[46:47], s[38:39]
	global_store_b64 v4, v[48:49], s[42:43] offset:16
.LBB4_57:                               ;   in Loop: Header=BB4_46 Depth=3
	s_wait_xcnt 0x0
	v_mov_b64_e32 v[48:49], v[34:35]
	s_clause 0x1
	global_store_b64 v4, v[40:41], s[42:43] offset:8
	global_store_b64 v4, v[42:43], s[30:31]
.LBB4_58:                               ;   in Loop: Header=BB4_46 Depth=3
	s_delay_alu instid0(VALU_DEP_1)
	v_mov_b64_e32 v[34:35], v[48:49]
	s_cbranch_execz .LBB4_61
	s_branch .LBB4_64
.LBB4_59:                               ;   in Loop: Header=BB4_46 Depth=3
	v_mov_b64_e32 v[38:39], 0
	v_cmp_neq_f64_e32 vcc_lo, 0, v[42:43]
	s_cbranch_vccnz .LBB4_50
.LBB4_60:                               ;   in Loop: Header=BB4_46 Depth=3
                                        ; implicit-def: $vgpr44_vgpr45
                                        ; implicit-def: $vgpr34_vgpr35
.LBB4_61:                               ;   in Loop: Header=BB4_46 Depth=3
	s_and_not1_b32 vcc_lo, exec_lo, s26
	global_store_b32 v4, v4, s[18:19]
	s_cbranch_vccnz .LBB4_63
; %bb.62:                               ;   in Loop: Header=BB4_46 Depth=3
	s_add_nc_u64 s[26:27], s[16:17], s[68:69]
	global_store_b64 v4, v[18:19], s[26:27]
.LBB4_63:                               ;   in Loop: Header=BB4_46 Depth=3
	v_mov_b64_e32 v[44:45], 0
	v_mov_b64_e32 v[34:35], v[36:37]
.LBB4_64:                               ;   in Loop: Header=BB4_46 Depth=3
	s_delay_alu instid0(VALU_DEP_2) | instskip(SKIP_1) | instid1(VALU_DEP_1)
	v_max_num_f64_e32 v[36:37], v[44:45], v[44:45]
	v_max_num_f64_e32 v[38:39], v[38:39], v[38:39]
	;; [unrolled: 1-line block ×3, first 2 shown]
	s_delay_alu instid0(VALU_DEP_1)
	v_cmp_nle_f64_e32 vcc_lo, v[36:37], v[6:7]
	s_cbranch_vccnz .LBB4_45
; %bb.65:                               ;   in Loop: Header=BB4_46 Depth=3
	global_load_b32 v5, v4, s[94:95]
	s_wait_loadcnt 0x0
	v_cmp_ne_u32_e32 vcc_lo, 0, v5
	s_cbranch_vccnz .LBB4_45
; %bb.66:                               ;   in Loop: Header=BB4_46 Depth=3
	v_mov_b32_e32 v5, s10
	global_store_b32 v4, v5, s[94:95]
	s_branch .LBB4_45
.LBB4_67:                               ;   in Loop: Header=BB4_27 Depth=2
	s_wait_loadcnt 0x0
	v_mov_b64_e32 v[32:33], v[2:3]
	s_wait_storecnt_dscnt 0x0
	s_wait_xcnt 0x0
	s_and_saveexec_b32 s10, s4
	s_cbranch_execnz .LBB4_253
	s_branch .LBB4_257
.LBB4_68:                               ;   in Loop: Header=BB4_27 Depth=2
	global_load_b64 v[36:37], v4, s[96:97]
	v_mul_f64_e32 v[34:35], v[6:7], v[34:35]
	s_wait_loadcnt 0x0
	s_delay_alu instid0(VALU_DEP_1)
	v_cmp_le_f64_e64 s10, |v[36:37]|, v[34:35]
	s_and_b32 vcc_lo, exec_lo, s10
	s_cbranch_vccz .LBB4_71
; %bb.69:                               ;   in Loop: Header=BB4_27 Depth=2
	global_load_b32 v5, v4, s[94:95]
	s_wait_loadcnt 0x0
	v_cmp_ne_u32_e32 vcc_lo, 0, v5
	s_cbranch_vccnz .LBB4_71
; %bb.70:                               ;   in Loop: Header=BB4_27 Depth=2
	global_store_b32 v4, v54, s[94:95]
.LBB4_71:                               ;   in Loop: Header=BB4_27 Depth=2
	s_wait_xcnt 0x0
	s_or_b32 exec_lo, exec_lo, s9
	v_add_f64_e64 v[32:33], v[2:3], -v[32:33]
	s_mov_b32 s67, 0
	s_mov_b32 s68, 0
	s_delay_alu instid0(VALU_DEP_1)
	v_cmp_gt_f64_e64 s66, |v[32:33]|, v[24:25]
	v_mov_b64_e32 v[32:33], 0
	v_bfrev_b32_e32 v5, -2
	s_and_saveexec_b32 s10, s7
	s_cbranch_execz .LBB4_75
.LBB4_72:                               ;   in Loop: Header=BB4_27 Depth=2
	v_mov_b64_e32 v[32:33], 0
	v_mov_b64_e32 v[34:35], v[10:11]
	v_bfrev_b32_e32 v5, -2
	v_mov_b32_e32 v36, v0
	s_mov_b32 s18, 0
.LBB4_73:                               ;   Parent Loop BB4_17 Depth=1
                                        ;     Parent Loop BB4_27 Depth=2
                                        ; =>    This Inner Loop Header: Depth=3
	global_load_b64 v[38:39], v[34:35], off
	v_cmp_eq_u32_e32 vcc_lo, 0x7fffffff, v5
	s_wait_xcnt 0x0
	v_add_nc_u64_e32 v[34:35], 0x800, v[34:35]
	s_wait_loadcnt 0x0
	v_cmp_lt_f64_e64 s19, v[32:33], |v[38:39]|
	v_and_b32_e32 v39, 0x7fffffff, v39
	s_or_b32 vcc_lo, s19, vcc_lo
	s_delay_alu instid0(VALU_DEP_1) | instid1(SALU_CYCLE_1)
	v_dual_add_nc_u32 v37, 1, v36 :: v_dual_cndmask_b32 v33, v33, v39, vcc_lo
	v_add_nc_u32_e32 v36, 0x100, v36
	s_delay_alu instid0(VALU_DEP_2) | instskip(NEXT) | instid1(VALU_DEP_2)
	v_dual_cndmask_b32 v32, v32, v38 :: v_dual_cndmask_b32 v5, v5, v37
	v_cmp_ge_u32_e64 s9, v36, v54
	s_or_b32 s18, s9, s18
	s_delay_alu instid0(SALU_CYCLE_1)
	s_and_not1_b32 exec_lo, exec_lo, s18
	s_cbranch_execnz .LBB4_73
; %bb.74:                               ;   in Loop: Header=BB4_27 Depth=2
	s_or_b32 exec_lo, exec_lo, s18
.LBB4_75:                               ;   Parent Loop BB4_17 Depth=1
                                        ;     Parent Loop BB4_27 Depth=2
                                        ; =>    This Loop Header: Depth=3
                                        ;         Child Loop BB4_112 Depth 4
                                        ;         Child Loop BB4_115 Depth 4
	;; [unrolled: 1-line block ×4, first 2 shown]
                                        ;           Child Loop BB4_131 Depth 5
                                        ;         Child Loop BB4_145 Depth 4
                                        ;           Child Loop BB4_146 Depth 5
                                        ;           Child Loop BB4_148 Depth 5
                                        ;         Child Loop BB4_153 Depth 4
	s_delay_alu instid0(SALU_CYCLE_1)
	s_or_b32 exec_lo, exec_lo, s10
	ds_store_b64 v50, v[32:33]
	ds_store_b32 v51, v5 offset:4096
	s_wait_storecnt_dscnt 0x0
	s_barrier_signal -1
	s_barrier_wait -1
	s_and_saveexec_b32 s10, s0
	s_cbranch_execz .LBB4_81
; %bb.76:                               ;   in Loop: Header=BB4_75 Depth=3
	ds_load_b64 v[34:35], v50 offset:1024
	ds_load_b32 v36, v51 offset:4608
	s_mov_b32 s19, exec_lo
	s_wait_dscnt 0x1
	v_cmp_lt_f64_e64 s18, v[32:33], v[34:35]
	v_cmpx_nlt_f64_e32 v[32:33], v[34:35]
	s_cbranch_execz .LBB4_78
; %bb.77:                               ;   in Loop: Header=BB4_75 Depth=3
	v_cmp_eq_f64_e32 vcc_lo, v[32:33], v[34:35]
	s_wait_dscnt 0x0
	v_cmp_gt_i32_e64 s9, v5, v36
	s_and_not1_b32 s18, s18, exec_lo
	s_and_b32 s9, vcc_lo, s9
	s_delay_alu instid0(SALU_CYCLE_1) | instskip(NEXT) | instid1(SALU_CYCLE_1)
	s_and_b32 s9, s9, exec_lo
	s_or_b32 s18, s18, s9
.LBB4_78:                               ;   in Loop: Header=BB4_75 Depth=3
	s_or_b32 exec_lo, exec_lo, s19
	s_and_saveexec_b32 s9, s18
	s_cbranch_execz .LBB4_80
; %bb.79:                               ;   in Loop: Header=BB4_75 Depth=3
	v_mov_b64_e32 v[32:33], v[34:35]
	s_wait_dscnt 0x0
	v_mov_b32_e32 v5, v36
	ds_store_b64 v50, v[34:35]
	ds_store_b32 v51, v36 offset:4096
.LBB4_80:                               ;   in Loop: Header=BB4_75 Depth=3
	s_or_b32 exec_lo, exec_lo, s9
.LBB4_81:                               ;   in Loop: Header=BB4_75 Depth=3
	s_delay_alu instid0(SALU_CYCLE_1)
	s_or_b32 exec_lo, exec_lo, s10
	s_wait_dscnt 0x0
	s_barrier_signal -1
	s_barrier_wait -1
	s_and_saveexec_b32 s10, s1
	s_cbranch_execz .LBB4_87
; %bb.82:                               ;   in Loop: Header=BB4_75 Depth=3
	ds_load_b64 v[34:35], v50 offset:512
	ds_load_b32 v36, v51 offset:4352
	s_mov_b32 s19, exec_lo
	s_wait_dscnt 0x1
	v_cmp_lt_f64_e64 s18, v[32:33], v[34:35]
	v_cmpx_nlt_f64_e32 v[32:33], v[34:35]
	s_cbranch_execz .LBB4_84
; %bb.83:                               ;   in Loop: Header=BB4_75 Depth=3
	v_cmp_eq_f64_e32 vcc_lo, v[32:33], v[34:35]
	s_wait_dscnt 0x0
	v_cmp_gt_i32_e64 s9, v5, v36
	s_and_not1_b32 s18, s18, exec_lo
	s_and_b32 s9, vcc_lo, s9
	s_delay_alu instid0(SALU_CYCLE_1) | instskip(NEXT) | instid1(SALU_CYCLE_1)
	s_and_b32 s9, s9, exec_lo
	s_or_b32 s18, s18, s9
.LBB4_84:                               ;   in Loop: Header=BB4_75 Depth=3
	s_or_b32 exec_lo, exec_lo, s19
	s_and_saveexec_b32 s9, s18
	s_cbranch_execz .LBB4_86
; %bb.85:                               ;   in Loop: Header=BB4_75 Depth=3
	v_mov_b64_e32 v[32:33], v[34:35]
	s_wait_dscnt 0x0
	v_mov_b32_e32 v5, v36
	ds_store_b64 v50, v[34:35]
	ds_store_b32 v51, v36 offset:4096
.LBB4_86:                               ;   in Loop: Header=BB4_75 Depth=3
	s_or_b32 exec_lo, exec_lo, s9
.LBB4_87:                               ;   in Loop: Header=BB4_75 Depth=3
	s_delay_alu instid0(SALU_CYCLE_1)
	s_or_b32 exec_lo, exec_lo, s10
	s_wait_dscnt 0x0
	s_barrier_signal -1
	s_barrier_wait -1
	s_and_saveexec_b32 s18, s3
	s_cbranch_execz .LBB4_110
; %bb.88:                               ;   in Loop: Header=BB4_75 Depth=3
	ds_load_b64 v[34:35], v50 offset:256
	ds_load_b32 v36, v51 offset:4224
	s_mov_b32 s19, exec_lo
	s_wait_dscnt 0x1
	v_cmp_lt_f64_e64 s10, v[32:33], v[34:35]
	v_cmpx_nlt_f64_e32 v[32:33], v[34:35]
	s_cbranch_execz .LBB4_90
; %bb.89:                               ;   in Loop: Header=BB4_75 Depth=3
	v_cmp_eq_f64_e32 vcc_lo, v[32:33], v[34:35]
	s_wait_dscnt 0x0
	v_cmp_gt_i32_e64 s9, v5, v36
	s_and_not1_b32 s10, s10, exec_lo
	s_and_b32 s9, vcc_lo, s9
	s_delay_alu instid0(SALU_CYCLE_1) | instskip(NEXT) | instid1(SALU_CYCLE_1)
	s_and_b32 s9, s9, exec_lo
	s_or_b32 s10, s10, s9
.LBB4_90:                               ;   in Loop: Header=BB4_75 Depth=3
	s_or_b32 exec_lo, exec_lo, s19
	s_and_saveexec_b32 s9, s10
	s_cbranch_execz .LBB4_92
; %bb.91:                               ;   in Loop: Header=BB4_75 Depth=3
	v_mov_b64_e32 v[32:33], v[34:35]
	s_wait_dscnt 0x0
	v_mov_b32_e32 v5, v36
	ds_store_b64 v50, v[34:35]
	ds_store_b32 v51, v36 offset:4096
.LBB4_92:                               ;   in Loop: Header=BB4_75 Depth=3
	s_or_b32 exec_lo, exec_lo, s9
	ds_load_b64 v[34:35], v50 offset:128
	s_wait_dscnt 0x1
	ds_load_b32 v36, v51 offset:4160
	s_mov_b32 s19, exec_lo
	s_wait_dscnt 0x1
	v_cmp_lt_f64_e64 s10, v[32:33], v[34:35]
	v_cmpx_nlt_f64_e32 v[32:33], v[34:35]
	s_cbranch_execz .LBB4_94
; %bb.93:                               ;   in Loop: Header=BB4_75 Depth=3
	v_cmp_eq_f64_e32 vcc_lo, v[32:33], v[34:35]
	s_wait_dscnt 0x0
	v_cmp_gt_i32_e64 s9, v5, v36
	s_and_not1_b32 s10, s10, exec_lo
	s_and_b32 s9, vcc_lo, s9
	s_delay_alu instid0(SALU_CYCLE_1) | instskip(NEXT) | instid1(SALU_CYCLE_1)
	s_and_b32 s9, s9, exec_lo
	s_or_b32 s10, s10, s9
.LBB4_94:                               ;   in Loop: Header=BB4_75 Depth=3
	s_or_b32 exec_lo, exec_lo, s19
	s_and_saveexec_b32 s9, s10
	s_cbranch_execz .LBB4_96
; %bb.95:                               ;   in Loop: Header=BB4_75 Depth=3
	v_mov_b64_e32 v[32:33], v[34:35]
	s_wait_dscnt 0x0
	v_mov_b32_e32 v5, v36
	ds_store_b64 v50, v[34:35]
	ds_store_b32 v51, v36 offset:4096
.LBB4_96:                               ;   in Loop: Header=BB4_75 Depth=3
	s_or_b32 exec_lo, exec_lo, s9
	ds_load_b64 v[34:35], v50 offset:64
	s_wait_dscnt 0x1
	ds_load_b32 v36, v51 offset:4128
	s_mov_b32 s19, exec_lo
	s_wait_dscnt 0x1
	v_cmp_lt_f64_e64 s10, v[32:33], v[34:35]
	v_cmpx_nlt_f64_e32 v[32:33], v[34:35]
	s_cbranch_execz .LBB4_98
; %bb.97:                               ;   in Loop: Header=BB4_75 Depth=3
	v_cmp_eq_f64_e32 vcc_lo, v[32:33], v[34:35]
	s_wait_dscnt 0x0
	v_cmp_gt_i32_e64 s9, v5, v36
	s_and_not1_b32 s10, s10, exec_lo
	s_and_b32 s9, vcc_lo, s9
	s_delay_alu instid0(SALU_CYCLE_1) | instskip(NEXT) | instid1(SALU_CYCLE_1)
	s_and_b32 s9, s9, exec_lo
	s_or_b32 s10, s10, s9
.LBB4_98:                               ;   in Loop: Header=BB4_75 Depth=3
	s_or_b32 exec_lo, exec_lo, s19
	s_and_saveexec_b32 s9, s10
	s_cbranch_execz .LBB4_100
; %bb.99:                               ;   in Loop: Header=BB4_75 Depth=3
	v_mov_b64_e32 v[32:33], v[34:35]
	s_wait_dscnt 0x0
	v_mov_b32_e32 v5, v36
	ds_store_b64 v50, v[34:35]
	ds_store_b32 v51, v36 offset:4096
.LBB4_100:                              ;   in Loop: Header=BB4_75 Depth=3
	s_or_b32 exec_lo, exec_lo, s9
	ds_load_b64 v[34:35], v50 offset:32
	s_wait_dscnt 0x1
	ds_load_b32 v36, v51 offset:4112
	s_mov_b32 s19, exec_lo
	s_wait_dscnt 0x1
	v_cmp_lt_f64_e64 s10, v[32:33], v[34:35]
	v_cmpx_nlt_f64_e32 v[32:33], v[34:35]
	s_cbranch_execz .LBB4_102
; %bb.101:                              ;   in Loop: Header=BB4_75 Depth=3
	v_cmp_eq_f64_e32 vcc_lo, v[32:33], v[34:35]
	s_wait_dscnt 0x0
	v_cmp_gt_i32_e64 s9, v5, v36
	s_and_not1_b32 s10, s10, exec_lo
	s_and_b32 s9, vcc_lo, s9
	s_delay_alu instid0(SALU_CYCLE_1) | instskip(NEXT) | instid1(SALU_CYCLE_1)
	s_and_b32 s9, s9, exec_lo
	s_or_b32 s10, s10, s9
.LBB4_102:                              ;   in Loop: Header=BB4_75 Depth=3
	s_or_b32 exec_lo, exec_lo, s19
	s_and_saveexec_b32 s9, s10
	s_cbranch_execz .LBB4_104
; %bb.103:                              ;   in Loop: Header=BB4_75 Depth=3
	v_mov_b64_e32 v[32:33], v[34:35]
	s_wait_dscnt 0x0
	v_mov_b32_e32 v5, v36
	ds_store_b64 v50, v[34:35]
	ds_store_b32 v51, v36 offset:4096
.LBB4_104:                              ;   in Loop: Header=BB4_75 Depth=3
	s_or_b32 exec_lo, exec_lo, s9
	ds_load_b64 v[34:35], v50 offset:16
	s_wait_dscnt 0x1
	ds_load_b32 v36, v51 offset:4104
	s_mov_b32 s19, exec_lo
	s_wait_dscnt 0x1
	v_cmp_lt_f64_e64 s10, v[32:33], v[34:35]
	v_cmpx_nlt_f64_e32 v[32:33], v[34:35]
	s_cbranch_execz .LBB4_106
; %bb.105:                              ;   in Loop: Header=BB4_75 Depth=3
	v_cmp_eq_f64_e32 vcc_lo, v[32:33], v[34:35]
	s_wait_dscnt 0x0
	v_cmp_gt_i32_e64 s9, v5, v36
	s_and_not1_b32 s10, s10, exec_lo
	s_and_b32 s9, vcc_lo, s9
	s_delay_alu instid0(SALU_CYCLE_1) | instskip(NEXT) | instid1(SALU_CYCLE_1)
	s_and_b32 s9, s9, exec_lo
	s_or_b32 s10, s10, s9
.LBB4_106:                              ;   in Loop: Header=BB4_75 Depth=3
	s_or_b32 exec_lo, exec_lo, s19
	s_and_saveexec_b32 s9, s10
	s_cbranch_execz .LBB4_108
; %bb.107:                              ;   in Loop: Header=BB4_75 Depth=3
	v_mov_b64_e32 v[32:33], v[34:35]
	s_wait_dscnt 0x0
	v_mov_b32_e32 v5, v36
	ds_store_b64 v50, v[34:35]
	ds_store_b32 v51, v36 offset:4096
.LBB4_108:                              ;   in Loop: Header=BB4_75 Depth=3
	s_or_b32 exec_lo, exec_lo, s9
	ds_load_b64 v[34:35], v50 offset:8
	s_wait_dscnt 0x0
	v_cmp_eq_f64_e32 vcc_lo, v[32:33], v[34:35]
	v_cmp_lt_f64_e64 s9, v[32:33], v[34:35]
	ds_load_b32 v32, v51 offset:4100
	s_wait_dscnt 0x0
	v_cmp_gt_i32_e64 s10, v5, v32
	s_and_b32 s10, vcc_lo, s10
	s_delay_alu instid0(SALU_CYCLE_1) | instskip(NEXT) | instid1(SALU_CYCLE_1)
	s_or_b32 s9, s9, s10
	s_and_b32 exec_lo, exec_lo, s9
	s_cbranch_execz .LBB4_110
; %bb.109:                              ;   in Loop: Header=BB4_75 Depth=3
	ds_store_b64 v50, v[34:35]
	ds_store_b32 v51, v32 offset:4096
.LBB4_110:                              ;   in Loop: Header=BB4_75 Depth=3
	s_or_b32 exec_lo, exec_lo, s18
	s_wait_dscnt 0x0
	s_barrier_signal -1
	s_barrier_wait -1
	s_and_saveexec_b32 s9, s5
	s_cbranch_execz .LBB4_113
; %bb.111:                              ;   in Loop: Header=BB4_75 Depth=3
	global_load_b64 v[32:33], v4, s[92:93]
	ds_load_b64 v[34:35], v53
	s_mov_b32 s10, 0
	s_wait_loadcnt 0x0
	v_cmp_lt_f64_e64 vcc_lo, s[20:21], |v[32:33]|
	v_and_b32_e32 v5, 0x7fffffff, v33
	s_delay_alu instid0(VALU_DEP_1) | instskip(SKIP_1) | instid1(VALU_DEP_1)
	v_cndmask_b32_e32 v33, s21, v5, vcc_lo
	v_dual_cndmask_b32 v32, s20, v32 :: v_dual_mov_b32 v5, v0
	v_mul_f64_e32 v[32:33], v[26:27], v[32:33]
	s_wait_dscnt 0x0
	s_delay_alu instid0(VALU_DEP_1) | instskip(NEXT) | instid1(VALU_DEP_1)
	v_div_scale_f64 v[36:37], null, v[34:35], v[34:35], v[32:33]
	v_rcp_f64_e32 v[38:39], v[36:37]
	v_nop
	s_delay_alu instid0(TRANS32_DEP_1) | instskip(NEXT) | instid1(VALU_DEP_1)
	v_fma_f64 v[40:41], -v[36:37], v[38:39], 1.0
	v_fmac_f64_e32 v[38:39], v[38:39], v[40:41]
	s_delay_alu instid0(VALU_DEP_1) | instskip(NEXT) | instid1(VALU_DEP_1)
	v_fma_f64 v[40:41], -v[36:37], v[38:39], 1.0
	v_fmac_f64_e32 v[38:39], v[38:39], v[40:41]
	v_div_scale_f64 v[40:41], vcc_lo, v[32:33], v[34:35], v[32:33]
	s_delay_alu instid0(VALU_DEP_1) | instskip(NEXT) | instid1(VALU_DEP_1)
	v_mul_f64_e32 v[42:43], v[40:41], v[38:39]
	v_fma_f64 v[36:37], -v[36:37], v[42:43], v[40:41]
	s_delay_alu instid0(VALU_DEP_1) | instskip(NEXT) | instid1(VALU_DEP_1)
	v_div_fmas_f64 v[36:37], v[36:37], v[38:39], v[42:43]
	v_div_fixup_f64 v[32:33], v[36:37], v[34:35], v[32:33]
	v_mov_b64_e32 v[34:35], v[10:11]
.LBB4_112:                              ;   Parent Loop BB4_17 Depth=1
                                        ;     Parent Loop BB4_27 Depth=2
                                        ;       Parent Loop BB4_75 Depth=3
                                        ; =>      This Inner Loop Header: Depth=4
	global_load_b64 v[36:37], v[34:35], off
	v_add_nc_u32_e32 v5, 0x100, v5
	s_delay_alu instid0(VALU_DEP_1)
	v_cmp_lt_i32_e32 vcc_lo, s88, v5
	s_or_b32 s10, vcc_lo, s10
	s_wait_loadcnt 0x0
	v_mul_f64_e32 v[36:37], v[32:33], v[36:37]
	global_store_b64 v[34:35], v[36:37], off
	s_wait_xcnt 0x0
	v_add_nc_u64_e32 v[34:35], 0x800, v[34:35]
	s_and_not1_b32 exec_lo, exec_lo, s10
	s_cbranch_execnz .LBB4_112
.LBB4_113:                              ;   in Loop: Header=BB4_75 Depth=3
	s_or_b32 exec_lo, exec_lo, s9
	s_wait_storecnt 0x0
	s_barrier_signal -1
	s_barrier_wait -1
	s_and_saveexec_b32 s69, s2
	s_cbranch_execz .LBB4_141
; %bb.114:                              ;   in Loop: Header=BB4_75 Depth=3
	s_clause 0x1
	global_load_b128 v[32:35], v4, s[54:55]
	global_load_b64 v[36:37], v4, s[56:57] offset:8
	s_and_not1_b32 vcc_lo, exec_lo, s8
	s_mov_b64 s[18:19], s[60:61]
	s_mov_b64 s[30:31], s[74:75]
	s_mov_b32 s9, s83
	s_wait_loadcnt 0x1
	v_max_num_f64_e64 v[34:35], |v[34:35]|, |v[34:35]|
	s_wait_loadcnt 0x0
	v_max_num_f64_e64 v[36:37], |v[36:37]|, |v[36:37]|
	v_max_num_f64_e64 v[32:33], |v[32:33]|, |v[32:33]|
	s_delay_alu instid0(VALU_DEP_2) | instskip(NEXT) | instid1(VALU_DEP_1)
	v_max_num_f64_e32 v[34:35], v[34:35], v[36:37]
	v_max_num_f64_e32 v[32:33], v[32:33], v[34:35]
	s_cbranch_vccnz .LBB4_116
.LBB4_115:                              ;   Parent Loop BB4_17 Depth=1
                                        ;     Parent Loop BB4_27 Depth=2
                                        ;       Parent Loop BB4_75 Depth=3
                                        ; =>      This Inner Loop Header: Depth=4
	s_add_nc_u64 s[26:27], s[30:31], s[50:51]
	s_clause 0x2
	global_load_b64 v[34:35], v4, s[30:31]
	global_load_b64 v[36:37], v4, s[18:19]
	;; [unrolled: 1-line block ×3, first 2 shown]
	v_max_num_f64_e32 v[32:33], v[32:33], v[32:33]
	s_add_co_i32 s9, s9, -1
	s_wait_xcnt 0x2
	s_add_nc_u64 s[30:31], s[30:31], 8
	s_cmp_lg_u32 s9, 0
	s_wait_xcnt 0x1
	s_add_nc_u64 s[18:19], s[18:19], 8
	s_wait_loadcnt 0x2
	v_max_num_f64_e64 v[34:35], |v[34:35]|, |v[34:35]|
	s_wait_loadcnt 0x1
	v_max_num_f64_e64 v[36:37], |v[36:37]|, |v[36:37]|
	;; [unrolled: 2-line block ×3, first 2 shown]
	s_delay_alu instid0(VALU_DEP_3) | instskip(NEXT) | instid1(VALU_DEP_2)
	v_max_num_f64_e32 v[32:33], v[32:33], v[34:35]
	v_max_num_f64_e32 v[34:35], v[38:39], v[36:37]
	s_delay_alu instid0(VALU_DEP_1)
	v_max_num_f64_e32 v[32:33], v[32:33], v[34:35]
	s_cbranch_scc1 .LBB4_115
.LBB4_116:                              ;   in Loop: Header=BB4_75 Depth=3
	s_mov_b32 s9, s88
	s_mov_b64 s[18:19], s[34:35]
	s_mov_b64 s[30:31], s[58:59]
	;; [unrolled: 1-line block ×3, first 2 shown]
	s_branch .LBB4_118
.LBB4_117:                              ;   in Loop: Header=BB4_118 Depth=4
	s_add_co_i32 s9, s9, -1
	s_wait_xcnt 0x0
	s_add_nc_u64 s[42:43], s[42:43], 8
	s_add_nc_u64 s[30:31], s[30:31], 8
	s_cmp_lg_u32 s9, 0
	s_add_nc_u64 s[18:19], s[18:19], 4
	s_cbranch_scc0 .LBB4_122
.LBB4_118:                              ;   Parent Loop BB4_17 Depth=1
                                        ;     Parent Loop BB4_27 Depth=2
                                        ;       Parent Loop BB4_75 Depth=3
                                        ; =>      This Inner Loop Header: Depth=4
	global_load_b32 v5, v4, s[18:19]
	s_wait_loadcnt 0x0
	v_cmp_ne_u32_e32 vcc_lo, 0, v5
	s_cbranch_vccz .LBB4_120
; %bb.119:                              ;   in Loop: Header=BB4_118 Depth=4
	global_load_b128 v[34:37], v4, s[42:43] offset:-8
	s_wait_loadcnt 0x0
	s_clause 0x1
	global_store_b64 v4, v[36:37], s[42:43] offset:-8
	global_load_b64 v[38:39], v4, s[30:31]
	s_wait_loadcnt 0x0
	v_fma_f64 v[34:35], -v[36:37], v[38:39], v[34:35]
	global_store_b64 v4, v[34:35], s[42:43]
	s_cbranch_execnz .LBB4_117
	s_branch .LBB4_121
.LBB4_120:                              ;   in Loop: Header=BB4_118 Depth=4
.LBB4_121:                              ;   in Loop: Header=BB4_118 Depth=4
	s_clause 0x1
	global_load_b128 v[34:37], v4, s[42:43] offset:-8
	global_load_b64 v[38:39], v4, s[30:31]
	s_wait_loadcnt 0x0
	v_fma_f64 v[34:35], -v[38:39], v[34:35], v[36:37]
	global_store_b64 v4, v[34:35], s[42:43]
	s_branch .LBB4_117
.LBB4_122:                              ;   in Loop: Header=BB4_75 Depth=3
	v_mul_f64_e32 v[32:33], s[20:21], v[32:33]
	s_delay_alu instid0(VALU_DEP_1)
	v_cmp_eq_f64_e32 vcc_lo, 0, v[32:33]
	v_readfirstlane_b32 s9, v33
	v_readfirstlane_b32 s10, v32
	s_and_b32 s18, vcc_lo, exec_lo
	s_cselect_b32 s42, s21, s9
	s_cselect_b32 s43, s20, s10
	s_and_b32 s76, s42, 0x7fffffff
	s_mov_b32 s77, s43
	s_mov_b32 s10, s88
	s_branch .LBB4_125
.LBB4_123:                              ;   in Loop: Header=BB4_125 Depth=4
	s_delay_alu instid0(VALU_DEP_1)
	v_mov_b64_e32 v[34:35], v[42:43]
.LBB4_124:                              ;   in Loop: Header=BB4_125 Depth=4
	s_delay_alu instid0(VALU_DEP_1)
	v_div_scale_f64 v[36:37], null, v[34:35], v[34:35], v[32:33]
	s_add_co_i32 s9, s10, -1
	s_cmp_gt_i32 s10, 0
	s_mov_b32 s10, s9
	v_rcp_f64_e32 v[38:39], v[36:37]
	v_nop
	s_delay_alu instid0(TRANS32_DEP_1) | instskip(NEXT) | instid1(VALU_DEP_1)
	v_fma_f64 v[40:41], -v[36:37], v[38:39], 1.0
	v_fmac_f64_e32 v[38:39], v[38:39], v[40:41]
	s_delay_alu instid0(VALU_DEP_1) | instskip(NEXT) | instid1(VALU_DEP_1)
	v_fma_f64 v[40:41], -v[36:37], v[38:39], 1.0
	v_fmac_f64_e32 v[38:39], v[38:39], v[40:41]
	v_div_scale_f64 v[40:41], vcc_lo, v[32:33], v[34:35], v[32:33]
	s_delay_alu instid0(VALU_DEP_1) | instskip(NEXT) | instid1(VALU_DEP_1)
	v_mul_f64_e32 v[42:43], v[40:41], v[38:39]
	v_fma_f64 v[36:37], -v[36:37], v[42:43], v[40:41]
	s_delay_alu instid0(VALU_DEP_1) | instskip(NEXT) | instid1(VALU_DEP_1)
	v_div_fmas_f64 v[36:37], v[36:37], v[38:39], v[42:43]
	v_div_fixup_f64 v[32:33], v[36:37], v[34:35], v[32:33]
	global_store_b64 v4, v[32:33], s[18:19]
	s_cbranch_scc0 .LBB4_141
.LBB4_125:                              ;   Parent Loop BB4_17 Depth=1
                                        ;     Parent Loop BB4_27 Depth=2
                                        ;       Parent Loop BB4_75 Depth=3
                                        ; =>      This Loop Header: Depth=4
                                        ;           Child Loop BB4_131 Depth 5
	s_wait_xcnt 0x2
	v_mov_b32_e32 v5, s10
	s_lshl_b64 s[30:31], s[10:11], 3
	s_cmp_ge_i32 s10, s88
	s_wait_xcnt 0x0
	s_add_nc_u64 s[18:19], s[48:49], s[30:31]
	global_load_b64 v[32:33], v5, s[48:49] scale_offset
	s_cbranch_scc1 .LBB4_127
; %bb.126:                              ;   in Loop: Header=BB4_125 Depth=4
	s_add_nc_u64 s[26:27], s[56:57], s[30:31]
	s_clause 0x1
	global_load_b64 v[34:35], v4, s[26:27] offset:8
	global_load_b64 v[36:37], v4, s[18:19] offset:8
	s_wait_loadcnt 0x0
	v_fma_f64 v[32:33], -v[34:35], v[36:37], v[32:33]
.LBB4_127:                              ;   in Loop: Header=BB4_125 Depth=4
	s_cmp_ge_i32 s10, s83
	s_cbranch_scc1 .LBB4_129
; %bb.128:                              ;   in Loop: Header=BB4_125 Depth=4
	s_wait_xcnt 0x1
	s_add_nc_u64 s[26:27], s[60:61], s[30:31]
	s_clause 0x1
	global_load_b64 v[34:35], v4, s[26:27]
	global_load_b64 v[36:37], v4, s[18:19] offset:16
	s_wait_loadcnt 0x0
	v_fma_f64 v[32:33], -v[34:35], v[36:37], v[32:33]
.LBB4_129:                              ;   in Loop: Header=BB4_125 Depth=4
	s_wait_xcnt 0x1
	s_add_nc_u64 s[26:27], s[54:55], s[30:31]
	global_load_b64 v[34:35], v4, s[26:27]
	s_wait_loadcnt 0x0
	v_cmp_nlt_f64_e64 s9, |v[34:35]|, 1.0
	s_and_b32 vcc_lo, exec_lo, s9
	s_cbranch_vccnz .LBB4_124
; %bb.130:                              ;   in Loop: Header=BB4_125 Depth=4
	v_cmp_nle_f64_e32 vcc_lo, 0, v[34:35]
	v_mul_f64_e64 v[36:37], s[22:23], |v[32:33]|
	s_xor_b32 s9, s76, 0x80000000
	s_wait_xcnt 0x0
	s_and_b32 s26, s42, 0x7fffffff
	v_and_b32_e32 v41, 0x7fffffff, v35
	v_mov_b32_e32 v40, v34
	s_and_b32 s27, vcc_lo, exec_lo
	s_cselect_b32 s27, s9, s26
	s_cselect_b32 s26, s77, s43
	s_delay_alu instid0(SALU_CYCLE_1)
	v_mov_b64_e32 v[38:39], s[26:27]
.LBB4_131:                              ;   Parent Loop BB4_17 Depth=1
                                        ;     Parent Loop BB4_27 Depth=2
                                        ;       Parent Loop BB4_75 Depth=3
                                        ;         Parent Loop BB4_125 Depth=4
                                        ; =>        This Inner Loop Header: Depth=5
	v_cmp_ngt_f64_e32 vcc_lo, s[22:23], v[40:41]
	s_mov_b32 s9, -1
	s_mov_b32 s26, 0
	s_mov_b32 s27, -1
	s_cbranch_vccnz .LBB4_135
; %bb.132:                              ;   in Loop: Header=BB4_131 Depth=5
	s_and_not1_b32 vcc_lo, exec_lo, s27
	s_cbranch_vccz .LBB4_136
.LBB4_133:                              ;   in Loop: Header=BB4_131 Depth=5
	s_and_not1_b32 vcc_lo, exec_lo, s26
	s_cbranch_vccnz .LBB4_137
.LBB4_134:                              ;   in Loop: Header=BB4_131 Depth=5
	v_add_f64_e32 v[42:43], v[34:35], v[38:39]
	v_add_f64_e32 v[38:39], v[38:39], v[38:39]
	s_mov_b32 s9, -1
	s_delay_alu instid0(VALU_DEP_2)
	v_cmp_nlt_f64_e64 s26, |v[42:43]|, 1.0
	v_and_b32_e32 v41, 0x7fffffff, v43
	v_mov_b32_e32 v40, v42
	s_and_not1_b32 vcc_lo, exec_lo, s26
	s_cbranch_vccnz .LBB4_138
	s_branch .LBB4_139
.LBB4_135:                              ;   in Loop: Header=BB4_131 Depth=5
	v_mul_f64_e32 v[42:43], v[8:9], v[40:41]
	s_delay_alu instid0(VALU_DEP_1)
	v_cmp_gt_f64_e64 s26, |v[32:33]|, v[42:43]
	s_cbranch_execnz .LBB4_133
.LBB4_136:                              ;   in Loop: Header=BB4_131 Depth=5
	v_cmp_eq_f64_e32 vcc_lo, 0, v[34:35]
	v_cmp_gt_f64_e64 s9, v[36:37], v[40:41]
	s_or_b32 s26, vcc_lo, s9
	s_mov_b32 s9, 0
	s_and_not1_b32 vcc_lo, exec_lo, s26
	s_cbranch_vccz .LBB4_134
.LBB4_137:                              ;   in Loop: Header=BB4_125 Depth=4
	v_mov_b64_e32 v[42:43], v[34:35]
                                        ; implicit-def: $vgpr38_vgpr39
                                        ; implicit-def: $vgpr40_vgpr41
	s_branch .LBB4_139
.LBB4_138:                              ;   in Loop: Header=BB4_131 Depth=5
	v_mov_b64_e32 v[34:35], v[42:43]
	s_branch .LBB4_131
.LBB4_139:                              ;   in Loop: Header=BB4_125 Depth=4
	s_and_not1_b32 vcc_lo, exec_lo, s9
	s_cbranch_vccz .LBB4_123
; %bb.140:                              ;   in Loop: Header=BB4_125 Depth=4
	v_mul_f64_e32 v[32:33], v[8:9], v[32:33]
	v_mul_f64_e32 v[42:43], v[8:9], v[34:35]
	s_branch .LBB4_123
.LBB4_141:                              ;   in Loop: Header=BB4_75 Depth=3
	s_wait_xcnt 0x0
	s_or_b32 exec_lo, exec_lo, s69
	s_delay_alu instid0(SALU_CYCLE_1)
	s_and_not1_b32 vcc_lo, exec_lo, s99
	s_wait_storecnt 0x0
	s_barrier_signal -1
	s_barrier_wait -1
	s_cbranch_vccnz .LBB4_151
; %bb.142:                              ;   in Loop: Header=BB4_75 Depth=3
	s_and_b32 s9, s66, exec_lo
	s_cselect_b32 s9, s98, s85
	s_mov_b32 s85, s98
	s_cmp_eq_u32 s9, s98
	s_cbranch_scc1 .LBB4_151
; %bb.143:                              ;   in Loop: Header=BB4_75 Depth=3
	s_cmp_lt_i32 s9, s98
	s_cselect_b32 s10, -1, 0
	s_delay_alu instid0(SALU_CYCLE_1) | instskip(NEXT) | instid1(SALU_CYCLE_1)
	s_and_b32 s18, s2, s10
	s_and_saveexec_b32 s10, s18
	s_cbranch_execz .LBB4_150
; %bb.144:                              ;   in Loop: Header=BB4_75 Depth=3
	s_mul_i32 s18, s29, s9
	s_mov_b32 s27, s9
	s_add_co_i32 s26, s84, s18
.LBB4_145:                              ;   Parent Loop BB4_17 Depth=1
                                        ;     Parent Loop BB4_27 Depth=2
                                        ;       Parent Loop BB4_75 Depth=3
                                        ; =>      This Loop Header: Depth=4
                                        ;           Child Loop BB4_146 Depth 5
                                        ;           Child Loop BB4_148 Depth 5
	v_mov_b64_e32 v[32:33], 0
	s_mov_b64 s[18:19], s[48:49]
	s_mov_b32 s30, s26
	s_mov_b32 s42, s87
.LBB4_146:                              ;   Parent Loop BB4_17 Depth=1
                                        ;     Parent Loop BB4_27 Depth=2
                                        ;       Parent Loop BB4_75 Depth=3
                                        ;         Parent Loop BB4_145 Depth=4
                                        ; =>        This Inner Loop Header: Depth=5
	s_ashr_i32 s31, s30, 31
	s_add_co_i32 s42, s42, -1
	s_wait_xcnt 0x0
	s_lshl_b64 s[38:39], s[30:31], 4
	s_add_co_i32 s30, s30, 1
	s_add_nc_u64 s[38:39], s[46:47], s[38:39]
	s_clause 0x1
	global_load_b64 v[34:35], v4, s[18:19]
	global_load_b64 v[36:37], v4, s[38:39]
	s_cmp_lg_u32 s42, 0
	s_wait_xcnt 0x1
	s_add_nc_u64 s[18:19], s[18:19], 8
	s_wait_loadcnt 0x0
	v_fmac_f64_e32 v[32:33], v[34:35], v[36:37]
	s_cbranch_scc1 .LBB4_146
; %bb.147:                              ;   in Loop: Header=BB4_145 Depth=4
	s_mov_b32 s30, 0
	s_mov_b64 s[18:19], s[48:49]
.LBB4_148:                              ;   Parent Loop BB4_17 Depth=1
                                        ;     Parent Loop BB4_27 Depth=2
                                        ;       Parent Loop BB4_75 Depth=3
                                        ;         Parent Loop BB4_145 Depth=4
                                        ; =>        This Inner Loop Header: Depth=5
	s_wait_xcnt 0x0
	s_add_co_i32 s38, s26, s30
	global_load_b64 v[34:35], v4, s[18:19]
	s_ashr_i32 s39, s38, 31
	s_add_co_i32 s30, s30, 1
	s_lshl_b64 s[38:39], s[38:39], 4
	s_cmp_lg_u32 s87, s30
	s_add_nc_u64 s[38:39], s[46:47], s[38:39]
	global_load_b64 v[36:37], v4, s[38:39]
	s_wait_loadcnt 0x0
	v_fma_f64 v[34:35], -v[32:33], v[36:37], v[34:35]
	global_store_b64 v4, v[34:35], s[18:19]
	s_wait_xcnt 0x0
	s_add_nc_u64 s[18:19], s[18:19], 8
	s_cbranch_scc1 .LBB4_148
; %bb.149:                              ;   in Loop: Header=BB4_145 Depth=4
	s_add_co_i32 s27, s27, 1
	s_add_co_i32 s26, s26, s29
	s_cmp_lt_i32 s27, s98
	s_cbranch_scc1 .LBB4_145
.LBB4_150:                              ;   in Loop: Header=BB4_75 Depth=3
	s_or_b32 exec_lo, exec_lo, s10
	s_mov_b32 s85, s9
	s_wait_storecnt 0x0
	s_barrier_signal -1
	s_barrier_wait -1
.LBB4_151:                              ;   in Loop: Header=BB4_75 Depth=3
	v_mov_b64_e32 v[32:33], 0
	v_bfrev_b32_e32 v5, -2
	s_and_saveexec_b32 s10, s7
	s_cbranch_execz .LBB4_155
; %bb.152:                              ;   in Loop: Header=BB4_75 Depth=3
	v_mov_b64_e32 v[32:33], 0
	v_mov_b64_e32 v[34:35], v[10:11]
	v_bfrev_b32_e32 v5, -2
	v_mov_b32_e32 v36, v0
	s_mov_b32 s18, 0
.LBB4_153:                              ;   Parent Loop BB4_17 Depth=1
                                        ;     Parent Loop BB4_27 Depth=2
                                        ;       Parent Loop BB4_75 Depth=3
                                        ; =>      This Inner Loop Header: Depth=4
	global_load_b64 v[38:39], v[34:35], off
	v_cmp_eq_u32_e32 vcc_lo, 0x7fffffff, v5
	s_wait_xcnt 0x0
	v_add_nc_u64_e32 v[34:35], 0x800, v[34:35]
	s_wait_loadcnt 0x0
	v_cmp_lt_f64_e64 s19, v[32:33], |v[38:39]|
	v_and_b32_e32 v39, 0x7fffffff, v39
	s_or_b32 vcc_lo, s19, vcc_lo
	s_delay_alu instid0(VALU_DEP_1) | instid1(SALU_CYCLE_1)
	v_dual_add_nc_u32 v37, 1, v36 :: v_dual_cndmask_b32 v33, v33, v39, vcc_lo
	v_add_nc_u32_e32 v36, 0x100, v36
	s_delay_alu instid0(VALU_DEP_2) | instskip(NEXT) | instid1(VALU_DEP_2)
	v_dual_cndmask_b32 v32, v32, v38 :: v_dual_cndmask_b32 v5, v5, v37
	v_cmp_ge_u32_e64 s9, v36, v54
	s_or_b32 s18, s9, s18
	s_delay_alu instid0(SALU_CYCLE_1)
	s_and_not1_b32 exec_lo, exec_lo, s18
	s_cbranch_execnz .LBB4_153
; %bb.154:                              ;   in Loop: Header=BB4_75 Depth=3
	s_or_b32 exec_lo, exec_lo, s18
.LBB4_155:                              ;   in Loop: Header=BB4_75 Depth=3
	s_delay_alu instid0(SALU_CYCLE_1)
	s_or_b32 exec_lo, exec_lo, s10
	ds_store_b64 v50, v[32:33]
	ds_store_b32 v51, v5 offset:4096
	s_wait_dscnt 0x0
	s_barrier_signal -1
	s_barrier_wait -1
	s_and_saveexec_b32 s10, s0
	s_cbranch_execz .LBB4_161
; %bb.156:                              ;   in Loop: Header=BB4_75 Depth=3
	ds_load_b64 v[34:35], v50 offset:1024
	ds_load_b32 v36, v51 offset:4608
	s_mov_b32 s19, exec_lo
	s_wait_dscnt 0x1
	v_cmp_lt_f64_e64 s18, v[32:33], v[34:35]
	v_cmpx_nlt_f64_e32 v[32:33], v[34:35]
	s_cbranch_execz .LBB4_158
; %bb.157:                              ;   in Loop: Header=BB4_75 Depth=3
	v_cmp_eq_f64_e32 vcc_lo, v[32:33], v[34:35]
	s_wait_dscnt 0x0
	v_cmp_gt_i32_e64 s9, v5, v36
	s_and_not1_b32 s18, s18, exec_lo
	s_and_b32 s9, vcc_lo, s9
	s_delay_alu instid0(SALU_CYCLE_1) | instskip(NEXT) | instid1(SALU_CYCLE_1)
	s_and_b32 s9, s9, exec_lo
	s_or_b32 s18, s18, s9
.LBB4_158:                              ;   in Loop: Header=BB4_75 Depth=3
	s_or_b32 exec_lo, exec_lo, s19
	s_and_saveexec_b32 s9, s18
	s_cbranch_execz .LBB4_160
; %bb.159:                              ;   in Loop: Header=BB4_75 Depth=3
	v_mov_b64_e32 v[32:33], v[34:35]
	s_wait_dscnt 0x0
	v_mov_b32_e32 v5, v36
	ds_store_b64 v50, v[34:35]
	ds_store_b32 v51, v36 offset:4096
.LBB4_160:                              ;   in Loop: Header=BB4_75 Depth=3
	s_or_b32 exec_lo, exec_lo, s9
.LBB4_161:                              ;   in Loop: Header=BB4_75 Depth=3
	s_delay_alu instid0(SALU_CYCLE_1)
	s_or_b32 exec_lo, exec_lo, s10
	s_wait_dscnt 0x0
	s_barrier_signal -1
	s_barrier_wait -1
	s_and_saveexec_b32 s10, s1
	s_cbranch_execz .LBB4_167
; %bb.162:                              ;   in Loop: Header=BB4_75 Depth=3
	ds_load_b64 v[34:35], v50 offset:512
	ds_load_b32 v36, v51 offset:4352
	s_mov_b32 s19, exec_lo
	s_wait_dscnt 0x1
	v_cmp_lt_f64_e64 s18, v[32:33], v[34:35]
	v_cmpx_nlt_f64_e32 v[32:33], v[34:35]
	s_cbranch_execz .LBB4_164
; %bb.163:                              ;   in Loop: Header=BB4_75 Depth=3
	v_cmp_eq_f64_e32 vcc_lo, v[32:33], v[34:35]
	s_wait_dscnt 0x0
	v_cmp_gt_i32_e64 s9, v5, v36
	s_and_not1_b32 s18, s18, exec_lo
	s_and_b32 s9, vcc_lo, s9
	s_delay_alu instid0(SALU_CYCLE_1) | instskip(NEXT) | instid1(SALU_CYCLE_1)
	s_and_b32 s9, s9, exec_lo
	s_or_b32 s18, s18, s9
.LBB4_164:                              ;   in Loop: Header=BB4_75 Depth=3
	s_or_b32 exec_lo, exec_lo, s19
	s_and_saveexec_b32 s9, s18
	s_cbranch_execz .LBB4_166
; %bb.165:                              ;   in Loop: Header=BB4_75 Depth=3
	v_mov_b64_e32 v[32:33], v[34:35]
	s_wait_dscnt 0x0
	v_mov_b32_e32 v5, v36
	ds_store_b64 v50, v[34:35]
	ds_store_b32 v51, v36 offset:4096
.LBB4_166:                              ;   in Loop: Header=BB4_75 Depth=3
	s_or_b32 exec_lo, exec_lo, s9
.LBB4_167:                              ;   in Loop: Header=BB4_75 Depth=3
	s_delay_alu instid0(SALU_CYCLE_1)
	s_or_b32 exec_lo, exec_lo, s10
	s_wait_dscnt 0x0
	s_barrier_signal -1
	s_barrier_wait -1
	s_and_saveexec_b32 s18, s3
	s_cbranch_execz .LBB4_190
; %bb.168:                              ;   in Loop: Header=BB4_75 Depth=3
	ds_load_b64 v[34:35], v50 offset:256
	ds_load_b32 v36, v51 offset:4224
	s_mov_b32 s19, exec_lo
	s_wait_dscnt 0x1
	v_cmp_lt_f64_e64 s10, v[32:33], v[34:35]
	v_cmpx_nlt_f64_e32 v[32:33], v[34:35]
	s_cbranch_execz .LBB4_170
; %bb.169:                              ;   in Loop: Header=BB4_75 Depth=3
	v_cmp_eq_f64_e32 vcc_lo, v[32:33], v[34:35]
	s_wait_dscnt 0x0
	v_cmp_gt_i32_e64 s9, v5, v36
	s_and_not1_b32 s10, s10, exec_lo
	s_and_b32 s9, vcc_lo, s9
	s_delay_alu instid0(SALU_CYCLE_1) | instskip(NEXT) | instid1(SALU_CYCLE_1)
	s_and_b32 s9, s9, exec_lo
	s_or_b32 s10, s10, s9
.LBB4_170:                              ;   in Loop: Header=BB4_75 Depth=3
	s_or_b32 exec_lo, exec_lo, s19
	s_and_saveexec_b32 s9, s10
	s_cbranch_execz .LBB4_172
; %bb.171:                              ;   in Loop: Header=BB4_75 Depth=3
	v_mov_b64_e32 v[32:33], v[34:35]
	s_wait_dscnt 0x0
	v_mov_b32_e32 v5, v36
	ds_store_b64 v50, v[34:35]
	ds_store_b32 v51, v36 offset:4096
.LBB4_172:                              ;   in Loop: Header=BB4_75 Depth=3
	s_or_b32 exec_lo, exec_lo, s9
	ds_load_b64 v[34:35], v50 offset:128
	s_wait_dscnt 0x1
	ds_load_b32 v36, v51 offset:4160
	s_mov_b32 s19, exec_lo
	s_wait_dscnt 0x1
	v_cmp_lt_f64_e64 s10, v[32:33], v[34:35]
	v_cmpx_nlt_f64_e32 v[32:33], v[34:35]
	s_cbranch_execz .LBB4_174
; %bb.173:                              ;   in Loop: Header=BB4_75 Depth=3
	v_cmp_eq_f64_e32 vcc_lo, v[32:33], v[34:35]
	s_wait_dscnt 0x0
	v_cmp_gt_i32_e64 s9, v5, v36
	s_and_not1_b32 s10, s10, exec_lo
	s_and_b32 s9, vcc_lo, s9
	s_delay_alu instid0(SALU_CYCLE_1) | instskip(NEXT) | instid1(SALU_CYCLE_1)
	s_and_b32 s9, s9, exec_lo
	s_or_b32 s10, s10, s9
.LBB4_174:                              ;   in Loop: Header=BB4_75 Depth=3
	s_or_b32 exec_lo, exec_lo, s19
	s_and_saveexec_b32 s9, s10
	s_cbranch_execz .LBB4_176
; %bb.175:                              ;   in Loop: Header=BB4_75 Depth=3
	v_mov_b64_e32 v[32:33], v[34:35]
	s_wait_dscnt 0x0
	v_mov_b32_e32 v5, v36
	ds_store_b64 v50, v[34:35]
	ds_store_b32 v51, v36 offset:4096
.LBB4_176:                              ;   in Loop: Header=BB4_75 Depth=3
	s_or_b32 exec_lo, exec_lo, s9
	ds_load_b64 v[34:35], v50 offset:64
	s_wait_dscnt 0x1
	;; [unrolled: 29-line block ×5, first 2 shown]
	v_cmp_eq_f64_e32 vcc_lo, v[32:33], v[34:35]
	v_cmp_lt_f64_e64 s9, v[32:33], v[34:35]
	ds_load_b32 v32, v51 offset:4100
	s_wait_dscnt 0x0
	v_cmp_gt_i32_e64 s10, v5, v32
	s_and_b32 s10, vcc_lo, s10
	s_delay_alu instid0(SALU_CYCLE_1) | instskip(NEXT) | instid1(SALU_CYCLE_1)
	s_or_b32 s9, s9, s10
	s_and_b32 exec_lo, exec_lo, s9
	s_cbranch_execz .LBB4_190
; %bb.189:                              ;   in Loop: Header=BB4_75 Depth=3
	ds_store_b64 v50, v[34:35]
	ds_store_b32 v51, v32 offset:4096
.LBB4_190:                              ;   in Loop: Header=BB4_75 Depth=3
	s_or_b32 exec_lo, exec_lo, s18
	s_wait_dscnt 0x0
	s_barrier_signal -1
	s_barrier_wait -1
	ds_load_b64 v[32:33], v53
	s_add_co_i32 s9, s68, 1
	s_wait_dscnt 0x0
	v_cmp_ge_f64_e32 vcc_lo, v[32:33], v[22:23]
	v_cndmask_b32_e64 v5, 0, 1, vcc_lo
	s_delay_alu instid0(VALU_DEP_1)
	v_readfirstlane_b32 s10, v5
	s_add_co_i32 s67, s67, s10
	s_cmp_lt_u32 s68, 4
	s_cselect_b32 s18, -1, 0
	s_cmp_lt_u32 s67, 2
	s_cselect_b32 s10, -1, 0
	s_delay_alu instid0(SALU_CYCLE_1) | instskip(NEXT) | instid1(SALU_CYCLE_1)
	s_and_b32 s18, s18, s10
	s_and_b32 vcc_lo, exec_lo, s18
	s_cbranch_vccz .LBB4_192
; %bb.191:                              ;   in Loop: Header=BB4_75 Depth=3
	s_mov_b32 s68, s9
	v_mov_b64_e32 v[32:33], 0
	v_bfrev_b32_e32 v5, -2
	s_and_saveexec_b32 s10, s7
	s_cbranch_execnz .LBB4_72
	s_branch .LBB4_75
.LBB4_192:                              ;   in Loop: Header=BB4_27 Depth=2
	s_and_b32 s10, s33, s10
	s_delay_alu instid0(SALU_CYCLE_1)
	s_and_saveexec_b32 s9, s10
	s_cbranch_execz .LBB4_194
; %bb.193:                              ;   in Loop: Header=BB4_27 Depth=2
	ds_load_b32 v5, v4
	s_add_co_i32 s10, s98, 1
	s_wait_dscnt 0x0
	v_dual_mov_b32 v32, s10 :: v_dual_add_nc_u32 v33, 1, v5
	global_store_b32 v5, v32, s[52:53] scale_offset
	ds_store_b32 v4, v33
.LBB4_194:                              ;   in Loop: Header=BB4_27 Depth=2
	s_wait_xcnt 0x0
	s_or_b32 exec_lo, exec_lo, s9
	v_mov_b64_e32 v[32:33], 0
	v_bfrev_b32_e32 v5, -2
	s_and_saveexec_b32 s10, s7
	s_cbranch_execz .LBB4_198
; %bb.195:                              ;   in Loop: Header=BB4_27 Depth=2
	v_mov_b64_e32 v[32:33], 0
	v_mov_b64_e32 v[34:35], v[10:11]
	v_bfrev_b32_e32 v5, -2
	v_mov_b32_e32 v36, v0
	s_mov_b32 s18, 0
.LBB4_196:                              ;   Parent Loop BB4_17 Depth=1
                                        ;     Parent Loop BB4_27 Depth=2
                                        ; =>    This Inner Loop Header: Depth=3
	global_load_b64 v[38:39], v[34:35], off
	v_cmp_eq_u32_e32 vcc_lo, 0x7fffffff, v5
	s_wait_xcnt 0x0
	v_add_nc_u64_e32 v[34:35], 0x800, v[34:35]
	s_wait_loadcnt 0x0
	v_cmp_lt_f64_e64 s19, v[32:33], |v[38:39]|
	v_and_b32_e32 v39, 0x7fffffff, v39
	s_or_b32 vcc_lo, s19, vcc_lo
	s_delay_alu instid0(VALU_DEP_1) | instid1(SALU_CYCLE_1)
	v_dual_add_nc_u32 v37, 1, v36 :: v_dual_cndmask_b32 v33, v33, v39, vcc_lo
	v_add_nc_u32_e32 v36, 0x100, v36
	s_delay_alu instid0(VALU_DEP_2) | instskip(NEXT) | instid1(VALU_DEP_2)
	v_dual_cndmask_b32 v32, v32, v38 :: v_dual_cndmask_b32 v5, v5, v37
	v_cmp_ge_u32_e64 s9, v36, v54
	s_or_b32 s18, s9, s18
	s_delay_alu instid0(SALU_CYCLE_1)
	s_and_not1_b32 exec_lo, exec_lo, s18
	s_cbranch_execnz .LBB4_196
; %bb.197:                              ;   in Loop: Header=BB4_27 Depth=2
	s_or_b32 exec_lo, exec_lo, s18
.LBB4_198:                              ;   in Loop: Header=BB4_27 Depth=2
	s_delay_alu instid0(SALU_CYCLE_1)
	s_or_b32 exec_lo, exec_lo, s10
	ds_store_b64 v50, v[32:33]
	ds_store_b32 v51, v5 offset:4096
	s_wait_storecnt_dscnt 0x0
	s_barrier_signal -1
	s_barrier_wait -1
	s_and_saveexec_b32 s10, s0
	s_cbranch_execz .LBB4_204
; %bb.199:                              ;   in Loop: Header=BB4_27 Depth=2
	ds_load_b64 v[34:35], v50 offset:1024
	ds_load_b32 v36, v51 offset:4608
	s_mov_b32 s19, exec_lo
	s_wait_dscnt 0x1
	v_cmp_lt_f64_e64 s18, v[32:33], v[34:35]
	v_cmpx_nlt_f64_e32 v[32:33], v[34:35]
	s_cbranch_execz .LBB4_201
; %bb.200:                              ;   in Loop: Header=BB4_27 Depth=2
	v_cmp_eq_f64_e32 vcc_lo, v[32:33], v[34:35]
	s_wait_dscnt 0x0
	v_cmp_gt_i32_e64 s9, v5, v36
	s_and_not1_b32 s18, s18, exec_lo
	s_and_b32 s9, vcc_lo, s9
	s_delay_alu instid0(SALU_CYCLE_1) | instskip(NEXT) | instid1(SALU_CYCLE_1)
	s_and_b32 s9, s9, exec_lo
	s_or_b32 s18, s18, s9
.LBB4_201:                              ;   in Loop: Header=BB4_27 Depth=2
	s_or_b32 exec_lo, exec_lo, s19
	s_and_saveexec_b32 s9, s18
	s_cbranch_execz .LBB4_203
; %bb.202:                              ;   in Loop: Header=BB4_27 Depth=2
	v_mov_b64_e32 v[32:33], v[34:35]
	s_wait_dscnt 0x0
	v_mov_b32_e32 v5, v36
	ds_store_b64 v50, v[34:35]
	ds_store_b32 v51, v36 offset:4096
.LBB4_203:                              ;   in Loop: Header=BB4_27 Depth=2
	s_or_b32 exec_lo, exec_lo, s9
.LBB4_204:                              ;   in Loop: Header=BB4_27 Depth=2
	s_delay_alu instid0(SALU_CYCLE_1)
	s_or_b32 exec_lo, exec_lo, s10
	s_wait_dscnt 0x0
	s_barrier_signal -1
	s_barrier_wait -1
	s_and_saveexec_b32 s10, s1
	s_cbranch_execz .LBB4_210
; %bb.205:                              ;   in Loop: Header=BB4_27 Depth=2
	ds_load_b64 v[34:35], v50 offset:512
	ds_load_b32 v36, v51 offset:4352
	s_mov_b32 s19, exec_lo
	s_wait_dscnt 0x1
	v_cmp_lt_f64_e64 s18, v[32:33], v[34:35]
	v_cmpx_nlt_f64_e32 v[32:33], v[34:35]
	s_cbranch_execz .LBB4_207
; %bb.206:                              ;   in Loop: Header=BB4_27 Depth=2
	v_cmp_eq_f64_e32 vcc_lo, v[32:33], v[34:35]
	s_wait_dscnt 0x0
	v_cmp_gt_i32_e64 s9, v5, v36
	s_and_not1_b32 s18, s18, exec_lo
	s_and_b32 s9, vcc_lo, s9
	s_delay_alu instid0(SALU_CYCLE_1) | instskip(NEXT) | instid1(SALU_CYCLE_1)
	s_and_b32 s9, s9, exec_lo
	s_or_b32 s18, s18, s9
.LBB4_207:                              ;   in Loop: Header=BB4_27 Depth=2
	s_or_b32 exec_lo, exec_lo, s19
	s_and_saveexec_b32 s9, s18
	s_cbranch_execz .LBB4_209
; %bb.208:                              ;   in Loop: Header=BB4_27 Depth=2
	v_mov_b64_e32 v[32:33], v[34:35]
	s_wait_dscnt 0x0
	v_mov_b32_e32 v5, v36
	ds_store_b64 v50, v[34:35]
	ds_store_b32 v51, v36 offset:4096
.LBB4_209:                              ;   in Loop: Header=BB4_27 Depth=2
	s_or_b32 exec_lo, exec_lo, s9
.LBB4_210:                              ;   in Loop: Header=BB4_27 Depth=2
	s_delay_alu instid0(SALU_CYCLE_1)
	s_or_b32 exec_lo, exec_lo, s10
	s_wait_dscnt 0x0
	s_barrier_signal -1
	s_barrier_wait -1
	s_and_saveexec_b32 s18, s3
	s_cbranch_execz .LBB4_233
; %bb.211:                              ;   in Loop: Header=BB4_27 Depth=2
	ds_load_b64 v[34:35], v50 offset:256
	ds_load_b32 v36, v51 offset:4224
	s_mov_b32 s19, exec_lo
	s_wait_dscnt 0x1
	v_cmp_lt_f64_e64 s10, v[32:33], v[34:35]
	v_cmpx_nlt_f64_e32 v[32:33], v[34:35]
	s_cbranch_execz .LBB4_213
; %bb.212:                              ;   in Loop: Header=BB4_27 Depth=2
	v_cmp_eq_f64_e32 vcc_lo, v[32:33], v[34:35]
	s_wait_dscnt 0x0
	v_cmp_gt_i32_e64 s9, v5, v36
	s_and_not1_b32 s10, s10, exec_lo
	s_and_b32 s9, vcc_lo, s9
	s_delay_alu instid0(SALU_CYCLE_1) | instskip(NEXT) | instid1(SALU_CYCLE_1)
	s_and_b32 s9, s9, exec_lo
	s_or_b32 s10, s10, s9
.LBB4_213:                              ;   in Loop: Header=BB4_27 Depth=2
	s_or_b32 exec_lo, exec_lo, s19
	s_and_saveexec_b32 s9, s10
	s_cbranch_execz .LBB4_215
; %bb.214:                              ;   in Loop: Header=BB4_27 Depth=2
	v_mov_b64_e32 v[32:33], v[34:35]
	s_wait_dscnt 0x0
	v_mov_b32_e32 v5, v36
	ds_store_b64 v50, v[34:35]
	ds_store_b32 v51, v36 offset:4096
.LBB4_215:                              ;   in Loop: Header=BB4_27 Depth=2
	s_or_b32 exec_lo, exec_lo, s9
	ds_load_b64 v[34:35], v50 offset:128
	s_wait_dscnt 0x1
	ds_load_b32 v36, v51 offset:4160
	s_mov_b32 s19, exec_lo
	s_wait_dscnt 0x1
	v_cmp_lt_f64_e64 s10, v[32:33], v[34:35]
	v_cmpx_nlt_f64_e32 v[32:33], v[34:35]
	s_cbranch_execz .LBB4_217
; %bb.216:                              ;   in Loop: Header=BB4_27 Depth=2
	v_cmp_eq_f64_e32 vcc_lo, v[32:33], v[34:35]
	s_wait_dscnt 0x0
	v_cmp_gt_i32_e64 s9, v5, v36
	s_and_not1_b32 s10, s10, exec_lo
	s_and_b32 s9, vcc_lo, s9
	s_delay_alu instid0(SALU_CYCLE_1) | instskip(NEXT) | instid1(SALU_CYCLE_1)
	s_and_b32 s9, s9, exec_lo
	s_or_b32 s10, s10, s9
.LBB4_217:                              ;   in Loop: Header=BB4_27 Depth=2
	s_or_b32 exec_lo, exec_lo, s19
	s_and_saveexec_b32 s9, s10
	s_cbranch_execz .LBB4_219
; %bb.218:                              ;   in Loop: Header=BB4_27 Depth=2
	v_mov_b64_e32 v[32:33], v[34:35]
	s_wait_dscnt 0x0
	v_mov_b32_e32 v5, v36
	ds_store_b64 v50, v[34:35]
	ds_store_b32 v51, v36 offset:4096
.LBB4_219:                              ;   in Loop: Header=BB4_27 Depth=2
	s_or_b32 exec_lo, exec_lo, s9
	ds_load_b64 v[34:35], v50 offset:64
	s_wait_dscnt 0x1
	;; [unrolled: 29-line block ×5, first 2 shown]
	v_cmp_eq_f64_e32 vcc_lo, v[32:33], v[34:35]
	v_cmp_lt_f64_e64 s9, v[32:33], v[34:35]
	ds_load_b32 v32, v51 offset:4100
	s_wait_dscnt 0x0
	v_cmp_gt_i32_e64 s10, v5, v32
	s_and_b32 s10, vcc_lo, s10
	s_delay_alu instid0(SALU_CYCLE_1) | instskip(NEXT) | instid1(SALU_CYCLE_1)
	s_or_b32 s9, s9, s10
	s_and_b32 exec_lo, exec_lo, s9
	s_cbranch_execz .LBB4_233
; %bb.232:                              ;   in Loop: Header=BB4_27 Depth=2
	ds_store_b64 v50, v[34:35]
	ds_store_b32 v51, v32 offset:4096
.LBB4_233:                              ;   in Loop: Header=BB4_27 Depth=2
	s_or_b32 exec_lo, exec_lo, s18
	v_mov_b64_e32 v[32:33], 0
	s_and_saveexec_b32 s9, s7
	s_cbranch_execz .LBB4_237
; %bb.234:                              ;   in Loop: Header=BB4_27 Depth=2
	v_mov_b64_e32 v[32:33], 0
	v_mov_b64_e32 v[34:35], v[10:11]
	v_mov_b32_e32 v5, v0
	s_mov_b32 s10, 0
.LBB4_235:                              ;   Parent Loop BB4_17 Depth=1
                                        ;     Parent Loop BB4_27 Depth=2
                                        ; =>    This Inner Loop Header: Depth=3
	global_load_b64 v[36:37], v[34:35], off
	v_add_nc_u32_e32 v5, 0x100, v5
	s_wait_xcnt 0x0
	v_add_nc_u64_e32 v[34:35], 0x800, v[34:35]
	s_delay_alu instid0(VALU_DEP_2)
	v_cmp_ge_u32_e32 vcc_lo, v5, v54
	s_or_b32 s10, vcc_lo, s10
	s_wait_loadcnt 0x0
	v_fmac_f64_e32 v[32:33], v[36:37], v[36:37]
	s_and_not1_b32 exec_lo, exec_lo, s10
	s_cbranch_execnz .LBB4_235
; %bb.236:                              ;   in Loop: Header=BB4_27 Depth=2
	s_or_b32 exec_lo, exec_lo, s10
.LBB4_237:                              ;   in Loop: Header=BB4_27 Depth=2
	s_delay_alu instid0(SALU_CYCLE_1)
	s_or_b32 exec_lo, exec_lo, s9
	v_add_nc_u32_e32 v5, v51, v1
	ds_store_b64 v5, v[32:33] offset:2048
	s_wait_dscnt 0x0
	s_barrier_signal -1
	s_barrier_wait -1
	s_and_saveexec_b32 s9, s0
	s_cbranch_execz .LBB4_239
; %bb.238:                              ;   in Loop: Header=BB4_27 Depth=2
	ds_load_b64 v[34:35], v5 offset:3072
	s_wait_dscnt 0x0
	v_add_f64_e32 v[32:33], v[32:33], v[34:35]
.LBB4_239:                              ;   in Loop: Header=BB4_27 Depth=2
	s_or_b32 exec_lo, exec_lo, s9
	s_barrier_signal -1
	s_barrier_wait -1
	s_and_saveexec_b32 s9, s0
; %bb.240:                              ;   in Loop: Header=BB4_27 Depth=2
	ds_store_b64 v5, v[32:33] offset:2048
; %bb.241:                              ;   in Loop: Header=BB4_27 Depth=2
	s_or_b32 exec_lo, exec_lo, s9
	s_wait_dscnt 0x0
	s_barrier_signal -1
	s_barrier_wait -1
	s_and_saveexec_b32 s9, s1
	s_cbranch_execz .LBB4_243
; %bb.242:                              ;   in Loop: Header=BB4_27 Depth=2
	ds_load_b64 v[34:35], v5 offset:2560
	s_wait_dscnt 0x0
	v_add_f64_e32 v[32:33], v[32:33], v[34:35]
.LBB4_243:                              ;   in Loop: Header=BB4_27 Depth=2
	s_or_b32 exec_lo, exec_lo, s9
	s_barrier_signal -1
	s_barrier_wait -1
	s_and_saveexec_b32 s9, s1
; %bb.244:                              ;   in Loop: Header=BB4_27 Depth=2
	ds_store_b64 v5, v[32:33] offset:2048
; %bb.245:                              ;   in Loop: Header=BB4_27 Depth=2
	s_or_b32 exec_lo, exec_lo, s9
	s_wait_dscnt 0x0
	s_barrier_signal -1
	s_barrier_wait -1
	s_and_saveexec_b32 s9, s3
	s_cbranch_execz .LBB4_247
; %bb.246:                              ;   in Loop: Header=BB4_27 Depth=2
	v_add_nc_u32_e32 v36, 0x800, v5
	ds_load_2addr_b64 v[32:35], v36 offset1:32
	s_wait_dscnt 0x0
	v_add_f64_e32 v[32:33], v[32:33], v[34:35]
	ds_store_b64 v5, v[32:33] offset:2048
	global_wb scope:SCOPE_DEV
	s_wait_storecnt_dscnt 0x0
	global_inv scope:SCOPE_DEV
	ds_load_2addr_b64 v[32:35], v36 offset1:16
	s_wait_dscnt 0x0
	v_add_f64_e32 v[32:33], v[32:33], v[34:35]
	ds_store_b64 v5, v[32:33] offset:2048
	global_wb scope:SCOPE_DEV
	s_wait_storecnt 0x0
	s_wait_loadcnt_dscnt 0x0
	global_inv scope:SCOPE_DEV
	ds_load_2addr_b64 v[32:35], v36 offset1:8
	s_wait_dscnt 0x0
	v_add_f64_e32 v[32:33], v[32:33], v[34:35]
	ds_store_b64 v5, v[32:33] offset:2048
	global_wb scope:SCOPE_DEV
	s_wait_storecnt 0x0
	s_wait_loadcnt_dscnt 0x0
	global_inv scope:SCOPE_DEV
	ds_load_2addr_b64 v[32:35], v36 offset1:4
	s_wait_dscnt 0x0
	v_add_f64_e32 v[32:33], v[32:33], v[34:35]
	ds_store_b64 v5, v[32:33] offset:2048
	global_wb scope:SCOPE_DEV
	s_wait_storecnt 0x0
	s_wait_loadcnt_dscnt 0x0
	global_inv scope:SCOPE_DEV
	ds_load_2addr_b64 v[32:35], v36 offset1:2
	s_wait_dscnt 0x0
	v_add_f64_e32 v[32:33], v[32:33], v[34:35]
	v_add_nc_u32_e32 v34, 0x800, v5
	ds_store_b64 v5, v[32:33] offset:2048
	global_wb scope:SCOPE_DEV
	s_wait_storecnt 0x0
	s_wait_loadcnt_dscnt 0x0
	global_inv scope:SCOPE_DEV
	ds_load_2addr_b64 v[32:35], v34 offset1:1
	s_wait_dscnt 0x0
	v_add_f64_e32 v[32:33], v[32:33], v[34:35]
	ds_store_b64 v5, v[32:33] offset:2048
	global_wb scope:SCOPE_DEV
	s_wait_storecnt 0x0
	s_wait_loadcnt_dscnt 0x0
	global_inv scope:SCOPE_DEV
.LBB4_247:                              ;   in Loop: Header=BB4_27 Depth=2
	s_or_b32 exec_lo, exec_lo, s9
	s_and_saveexec_b32 s9, s2
	s_cbranch_execz .LBB4_249
; %bb.248:                              ;   in Loop: Header=BB4_27 Depth=2
	ds_load_b64 v[32:33], v53 offset:2048
	s_wait_dscnt 0x0
	v_cmp_gt_f64_e32 vcc_lo, 0x10000000, v[32:33]
	s_and_b32 s10, vcc_lo, exec_lo
	s_cselect_b32 s10, 0x100, 0
	s_delay_alu instid0(SALU_CYCLE_1) | instskip(SKIP_1) | instid1(VALU_DEP_1)
	v_ldexp_f64 v[32:33], v[32:33], s10
	s_cselect_b32 s10, 0xffffff80, 0
	v_rsq_f64_e32 v[34:35], v[32:33]
	v_cmp_class_f64_e64 vcc_lo, v[32:33], 0x260
	s_delay_alu instid0(TRANS32_DEP_1) | instskip(SKIP_1) | instid1(VALU_DEP_1)
	v_mul_f64_e32 v[36:37], v[32:33], v[34:35]
	v_mul_f64_e32 v[34:35], 0.5, v[34:35]
	v_fma_f64 v[38:39], -v[34:35], v[36:37], 0.5
	s_delay_alu instid0(VALU_DEP_1) | instskip(SKIP_1) | instid1(VALU_DEP_2)
	v_fmac_f64_e32 v[36:37], v[36:37], v[38:39]
	v_fmac_f64_e32 v[34:35], v[34:35], v[38:39]
	v_fma_f64 v[38:39], -v[36:37], v[36:37], v[32:33]
	s_delay_alu instid0(VALU_DEP_1) | instskip(NEXT) | instid1(VALU_DEP_1)
	v_fmac_f64_e32 v[36:37], v[38:39], v[34:35]
	v_fma_f64 v[38:39], -v[36:37], v[36:37], v[32:33]
	s_delay_alu instid0(VALU_DEP_1) | instskip(NEXT) | instid1(VALU_DEP_1)
	v_fmac_f64_e32 v[36:37], v[38:39], v[34:35]
	v_ldexp_f64 v[34:35], v[36:37], s10
	s_delay_alu instid0(VALU_DEP_1)
	v_dual_cndmask_b32 v33, v35, v33 :: v_dual_cndmask_b32 v32, v34, v32
	ds_store_b64 v53, v[32:33] offset:2048
.LBB4_249:                              ;   in Loop: Header=BB4_27 Depth=2
	s_or_b32 exec_lo, exec_lo, s9
	s_wait_loadcnt_dscnt 0x0
	s_barrier_signal -1
	s_barrier_wait -1
	ds_load_b32 v5, v53 offset:4096
	ds_load_b64 v[32:33], v53 offset:2048
	s_wait_dscnt 0x1
	global_load_b64 v[34:35], v5, s[48:49] offset:-8 scale_offset
	s_wait_loadcnt_dscnt 0x0
	s_barrier_signal -1
	s_barrier_wait -1
	s_and_saveexec_b32 s9, s5
	s_cbranch_execz .LBB4_252
; %bb.250:                              ;   in Loop: Header=BB4_27 Depth=2
	v_cmp_nle_f64_e32 vcc_lo, 0, v[34:35]
	s_mov_b32 s10, 0xbff00000
	s_mov_b32 s18, 0
	v_mov_b32_e32 v5, v0
	s_and_b32 s19, vcc_lo, exec_lo
	s_cselect_b32 s19, s10, 0x3ff00000
	s_delay_alu instid0(SALU_CYCLE_1) | instskip(NEXT) | instid1(VALU_DEP_1)
	v_div_scale_f64 v[34:35], null, v[32:33], v[32:33], s[18:19]
	v_rcp_f64_e32 v[36:37], v[34:35]
	v_nop
	s_delay_alu instid0(TRANS32_DEP_1) | instskip(NEXT) | instid1(VALU_DEP_1)
	v_fma_f64 v[38:39], -v[34:35], v[36:37], 1.0
	v_fmac_f64_e32 v[36:37], v[36:37], v[38:39]
	s_delay_alu instid0(VALU_DEP_1) | instskip(NEXT) | instid1(VALU_DEP_1)
	v_fma_f64 v[38:39], -v[34:35], v[36:37], 1.0
	v_fmac_f64_e32 v[36:37], v[36:37], v[38:39]
	v_div_scale_f64 v[38:39], vcc_lo, s[18:19], v[32:33], s[18:19]
	s_delay_alu instid0(VALU_DEP_1) | instskip(NEXT) | instid1(VALU_DEP_1)
	v_mul_f64_e32 v[40:41], v[38:39], v[36:37]
	v_fma_f64 v[34:35], -v[34:35], v[40:41], v[38:39]
	s_delay_alu instid0(VALU_DEP_1) | instskip(NEXT) | instid1(VALU_DEP_1)
	v_div_fmas_f64 v[34:35], v[34:35], v[36:37], v[40:41]
	v_div_fixup_f64 v[32:33], v[34:35], v[32:33], s[18:19]
	v_mov_b64_e32 v[34:35], v[10:11]
.LBB4_251:                              ;   Parent Loop BB4_17 Depth=1
                                        ;     Parent Loop BB4_27 Depth=2
                                        ; =>    This Inner Loop Header: Depth=3
	global_load_b64 v[36:37], v[34:35], off
	v_add_nc_u32_e32 v5, 0x100, v5
	s_delay_alu instid0(VALU_DEP_1)
	v_cmp_lt_i32_e32 vcc_lo, s88, v5
	s_or_b32 s18, vcc_lo, s18
	s_wait_loadcnt 0x0
	v_mul_f64_e32 v[36:37], v[32:33], v[36:37]
	global_store_b64 v[34:35], v[36:37], off
	s_wait_xcnt 0x0
	v_add_nc_u64_e32 v[34:35], 0x800, v[34:35]
	s_and_not1_b32 exec_lo, exec_lo, s18
	s_cbranch_execnz .LBB4_251
.LBB4_252:                              ;   in Loop: Header=BB4_27 Depth=2
	s_or_b32 exec_lo, exec_lo, s9
	v_mov_b64_e32 v[32:33], v[2:3]
	s_wait_storecnt 0x0
	s_barrier_signal -1
	s_barrier_wait -1
	s_and_saveexec_b32 s10, s4
	s_cbranch_execz .LBB4_257
.LBB4_253:                              ;   in Loop: Header=BB4_27 Depth=2
	v_mov_b32_e32 v34, v0
	s_mov_b32 s18, 0
	s_branch .LBB4_255
.LBB4_254:                              ;   in Loop: Header=BB4_255 Depth=3
	s_wait_xcnt 0x0
	s_or_b32 exec_lo, exec_lo, s9
	v_dual_add_nc_u32 v35, vcc_hi, v34 :: v_dual_mov_b32 v5, v4
	v_add_nc_u32_e32 v34, 0x100, v34
	s_wait_loadcnt 0x0
	global_store_b128 v35, v[2:5], s[46:47] scale_offset
	v_cmp_le_i32_e32 vcc_lo, s24, v34
	s_or_b32 s18, vcc_lo, s18
	s_wait_xcnt 0x0
	s_and_not1_b32 exec_lo, exec_lo, s18
	s_cbranch_execz .LBB4_257
.LBB4_255:                              ;   Parent Loop BB4_17 Depth=1
                                        ;     Parent Loop BB4_27 Depth=2
                                        ; =>    This Inner Loop Header: Depth=3
	s_delay_alu instid0(VALU_DEP_1) | instskip(SKIP_3) | instid1(SALU_CYCLE_1)
	v_cmp_le_i32_e32 vcc_lo, s84, v34
	v_cmp_gt_i32_e64 s9, s86, v34
	v_mov_b64_e32 v[2:3], 0
	s_and_b32 s19, vcc_lo, s9
	s_and_saveexec_b32 s9, s19
	s_cbranch_execz .LBB4_254
; %bb.256:                              ;   in Loop: Header=BB4_255 Depth=3
	v_add_nc_u32_e32 v2, s89, v34
	global_load_b64 v[2:3], v2, s[48:49] scale_offset
	s_branch .LBB4_254
.LBB4_257:                              ;   in Loop: Header=BB4_27 Depth=2
	s_or_b32 exec_lo, exec_lo, s10
	s_add_co_i32 s98, s98, 1
	s_add_co_i32 s104, s104, 1
	s_add_co_i32 vcc_hi, vcc_hi, s29
	s_cmp_ge_i32 s98, s44
	s_wait_storecnt 0x0
	s_barrier_signal -1
	s_barrier_wait -1
	s_cselect_b32 s9, -1, 0
	s_mov_b32 s10, s25
	s_and_b32 vcc_lo, exec_lo, s9
	s_cbranch_vccz .LBB4_27
	s_branch .LBB4_15
.LBB4_258:
	s_wait_xcnt 0x0
	s_and_saveexec_b32 s0, s2
	s_cbranch_execz .LBB4_260
; %bb.259:
	v_mov_b32_e32 v0, 0
	v_readlane_b32 s0, v55, 0
	v_readlane_b32 s1, v55, 1
	ds_load_b32 v1, v0
	s_add_nc_u64 s[0:1], s[14:15], s[0:1]
	s_wait_dscnt 0x0
	global_store_b32 v0, v1, s[0:1]
.LBB4_260:
	s_endpgm
	.section	.rodata,"a",@progbits
	.p2align	6, 0x0
	.amdhsa_kernel _ZN9rocsolver6v33100L12stein_kernelI19rocblas_complex_numIdEdPS3_EEviPT0_lS6_lPiS6_lS7_lS7_lT1_iilS7_lS7_S6_S7_S5_S5_
		.amdhsa_group_segment_fixed_size 8
		.amdhsa_private_segment_fixed_size 0
		.amdhsa_kernarg_size 176
		.amdhsa_user_sgpr_count 2
		.amdhsa_user_sgpr_dispatch_ptr 0
		.amdhsa_user_sgpr_queue_ptr 0
		.amdhsa_user_sgpr_kernarg_segment_ptr 1
		.amdhsa_user_sgpr_dispatch_id 0
		.amdhsa_user_sgpr_kernarg_preload_length 0
		.amdhsa_user_sgpr_kernarg_preload_offset 0
		.amdhsa_user_sgpr_private_segment_size 0
		.amdhsa_wavefront_size32 1
		.amdhsa_uses_dynamic_stack 0
		.amdhsa_enable_private_segment 0
		.amdhsa_system_sgpr_workgroup_id_x 1
		.amdhsa_system_sgpr_workgroup_id_y 1
		.amdhsa_system_sgpr_workgroup_id_z 0
		.amdhsa_system_sgpr_workgroup_info 0
		.amdhsa_system_vgpr_workitem_id 0
		.amdhsa_next_free_vgpr 64
		.amdhsa_next_free_sgpr 105
		.amdhsa_named_barrier_count 0
		.amdhsa_reserve_vcc 1
		.amdhsa_float_round_mode_32 0
		.amdhsa_float_round_mode_16_64 0
		.amdhsa_float_denorm_mode_32 3
		.amdhsa_float_denorm_mode_16_64 3
		.amdhsa_fp16_overflow 0
		.amdhsa_memory_ordered 1
		.amdhsa_forward_progress 1
		.amdhsa_inst_pref_size 87
		.amdhsa_round_robin_scheduling 0
		.amdhsa_exception_fp_ieee_invalid_op 0
		.amdhsa_exception_fp_denorm_src 0
		.amdhsa_exception_fp_ieee_div_zero 0
		.amdhsa_exception_fp_ieee_overflow 0
		.amdhsa_exception_fp_ieee_underflow 0
		.amdhsa_exception_fp_ieee_inexact 0
		.amdhsa_exception_int_div_zero 0
	.end_amdhsa_kernel
	.section	.text._ZN9rocsolver6v33100L12stein_kernelI19rocblas_complex_numIdEdPS3_EEviPT0_lS6_lPiS6_lS7_lS7_lT1_iilS7_lS7_S6_S7_S5_S5_,"axG",@progbits,_ZN9rocsolver6v33100L12stein_kernelI19rocblas_complex_numIdEdPS3_EEviPT0_lS6_lPiS6_lS7_lS7_lT1_iilS7_lS7_S6_S7_S5_S5_,comdat
.Lfunc_end4:
	.size	_ZN9rocsolver6v33100L12stein_kernelI19rocblas_complex_numIdEdPS3_EEviPT0_lS6_lPiS6_lS7_lS7_lT1_iilS7_lS7_S6_S7_S5_S5_, .Lfunc_end4-_ZN9rocsolver6v33100L12stein_kernelI19rocblas_complex_numIdEdPS3_EEviPT0_lS6_lPiS6_lS7_lS7_lT1_iilS7_lS7_S6_S7_S5_S5_
                                        ; -- End function
	.set _ZN9rocsolver6v33100L12stein_kernelI19rocblas_complex_numIdEdPS3_EEviPT0_lS6_lPiS6_lS7_lS7_lT1_iilS7_lS7_S6_S7_S5_S5_.num_vgpr, 64
	.set _ZN9rocsolver6v33100L12stein_kernelI19rocblas_complex_numIdEdPS3_EEviPT0_lS6_lPiS6_lS7_lS7_lT1_iilS7_lS7_S6_S7_S5_S5_.num_agpr, 0
	.set _ZN9rocsolver6v33100L12stein_kernelI19rocblas_complex_numIdEdPS3_EEviPT0_lS6_lPiS6_lS7_lS7_lT1_iilS7_lS7_S6_S7_S5_S5_.numbered_sgpr, 105
	.set _ZN9rocsolver6v33100L12stein_kernelI19rocblas_complex_numIdEdPS3_EEviPT0_lS6_lPiS6_lS7_lS7_lT1_iilS7_lS7_S6_S7_S5_S5_.num_named_barrier, 0
	.set _ZN9rocsolver6v33100L12stein_kernelI19rocblas_complex_numIdEdPS3_EEviPT0_lS6_lPiS6_lS7_lS7_lT1_iilS7_lS7_S6_S7_S5_S5_.private_seg_size, 0
	.set _ZN9rocsolver6v33100L12stein_kernelI19rocblas_complex_numIdEdPS3_EEviPT0_lS6_lPiS6_lS7_lS7_lT1_iilS7_lS7_S6_S7_S5_S5_.uses_vcc, 1
	.set _ZN9rocsolver6v33100L12stein_kernelI19rocblas_complex_numIdEdPS3_EEviPT0_lS6_lPiS6_lS7_lS7_lT1_iilS7_lS7_S6_S7_S5_S5_.uses_flat_scratch, 0
	.set _ZN9rocsolver6v33100L12stein_kernelI19rocblas_complex_numIdEdPS3_EEviPT0_lS6_lPiS6_lS7_lS7_lT1_iilS7_lS7_S6_S7_S5_S5_.has_dyn_sized_stack, 0
	.set _ZN9rocsolver6v33100L12stein_kernelI19rocblas_complex_numIdEdPS3_EEviPT0_lS6_lPiS6_lS7_lS7_lT1_iilS7_lS7_S6_S7_S5_S5_.has_recursion, 0
	.set _ZN9rocsolver6v33100L12stein_kernelI19rocblas_complex_numIdEdPS3_EEviPT0_lS6_lPiS6_lS7_lS7_lT1_iilS7_lS7_S6_S7_S5_S5_.has_indirect_call, 0
	.section	.AMDGPU.csdata,"",@progbits
; Kernel info:
; codeLenInByte = 11092
; TotalNumSgprs: 107
; NumVgprs: 64
; ScratchSize: 0
; MemoryBound: 1
; FloatMode: 240
; IeeeMode: 1
; LDSByteSize: 8 bytes/workgroup (compile time only)
; SGPRBlocks: 0
; VGPRBlocks: 3
; NumSGPRsForWavesPerEU: 107
; NumVGPRsForWavesPerEU: 64
; NamedBarCnt: 0
; Occupancy: 16
; WaveLimiterHint : 1
; COMPUTE_PGM_RSRC2:SCRATCH_EN: 0
; COMPUTE_PGM_RSRC2:USER_SGPR: 2
; COMPUTE_PGM_RSRC2:TRAP_HANDLER: 0
; COMPUTE_PGM_RSRC2:TGID_X_EN: 1
; COMPUTE_PGM_RSRC2:TGID_Y_EN: 1
; COMPUTE_PGM_RSRC2:TGID_Z_EN: 0
; COMPUTE_PGM_RSRC2:TIDIG_COMP_CNT: 0
	.section	.AMDGPU.gpr_maximums,"",@progbits
	.set amdgpu.max_num_vgpr, 0
	.set amdgpu.max_num_agpr, 0
	.set amdgpu.max_num_sgpr, 0
	.section	.AMDGPU.csdata,"",@progbits
	.type	__hip_cuid_53f0d5eea0370581,@object ; @__hip_cuid_53f0d5eea0370581
	.section	.bss,"aw",@nobits
	.globl	__hip_cuid_53f0d5eea0370581
__hip_cuid_53f0d5eea0370581:
	.byte	0                               ; 0x0
	.size	__hip_cuid_53f0d5eea0370581, 1

	.ident	"AMD clang version 22.0.0git (https://github.com/RadeonOpenCompute/llvm-project roc-7.2.4 26084 f58b06dce1f9c15707c5f808fd002e18c2accf7e)"
	.section	".note.GNU-stack","",@progbits
	.addrsig
	.addrsig_sym __hip_cuid_53f0d5eea0370581
	.amdgpu_metadata
---
amdhsa.kernels:
  - .args:
      - .address_space:  global
        .offset:         0
        .size:           8
        .value_kind:     global_buffer
      - .offset:         8
        .size:           4
        .value_kind:     by_value
      - .offset:         12
        .size:           4
        .value_kind:     by_value
      - .offset:         16
        .size:           4
        .value_kind:     by_value
      - .offset:         24
        .size:           4
        .value_kind:     hidden_block_count_x
      - .offset:         28
        .size:           4
        .value_kind:     hidden_block_count_y
      - .offset:         32
        .size:           4
        .value_kind:     hidden_block_count_z
      - .offset:         36
        .size:           2
        .value_kind:     hidden_group_size_x
      - .offset:         38
        .size:           2
        .value_kind:     hidden_group_size_y
      - .offset:         40
        .size:           2
        .value_kind:     hidden_group_size_z
      - .offset:         42
        .size:           2
        .value_kind:     hidden_remainder_x
      - .offset:         44
        .size:           2
        .value_kind:     hidden_remainder_y
      - .offset:         46
        .size:           2
        .value_kind:     hidden_remainder_z
      - .offset:         64
        .size:           8
        .value_kind:     hidden_global_offset_x
      - .offset:         72
        .size:           8
        .value_kind:     hidden_global_offset_y
      - .offset:         80
        .size:           8
        .value_kind:     hidden_global_offset_z
      - .offset:         88
        .size:           2
        .value_kind:     hidden_grid_dims
    .group_segment_fixed_size: 0
    .kernarg_segment_align: 8
    .kernarg_segment_size: 280
    .language:       OpenCL C
    .language_version:
      - 2
      - 0
    .max_flat_workgroup_size: 1024
    .name:           _ZN9rocsolver6v33100L10reset_infoIiiiEEvPT_T0_T1_S4_
    .private_segment_fixed_size: 0
    .sgpr_count:     9
    .sgpr_spill_count: 0
    .symbol:         _ZN9rocsolver6v33100L10reset_infoIiiiEEvPT_T0_T1_S4_.kd
    .uniform_work_group_size: 1
    .uses_dynamic_stack: false
    .vgpr_count:     2
    .vgpr_spill_count: 0
    .wavefront_size: 32
  - .args:
      - .offset:         0
        .size:           4
        .value_kind:     by_value
      - .address_space:  global
        .offset:         8
        .size:           8
        .value_kind:     global_buffer
      - .offset:         16
        .size:           8
        .value_kind:     by_value
      - .address_space:  global
        .offset:         24
        .size:           8
        .value_kind:     global_buffer
      - .offset:         32
        .size:           8
        .value_kind:     by_value
      - .address_space:  global
        .offset:         40
        .size:           8
        .value_kind:     global_buffer
      - .address_space:  global
        .offset:         48
        .size:           8
        .value_kind:     global_buffer
      - .offset:         56
        .size:           8
        .value_kind:     by_value
      - .address_space:  global
        .offset:         64
        .size:           8
        .value_kind:     global_buffer
      - .offset:         72
        .size:           8
        .value_kind:     by_value
      - .address_space:  global
        .offset:         80
        .size:           8
        .value_kind:     global_buffer
      - .offset:         88
        .size:           8
        .value_kind:     by_value
      - .address_space:  global
        .offset:         96
        .size:           8
        .value_kind:     global_buffer
      - .offset:         104
        .size:           4
        .value_kind:     by_value
      - .offset:         108
        .size:           4
        .value_kind:     by_value
      - .offset:         112
        .size:           8
        .value_kind:     by_value
      - .address_space:  global
        .offset:         120
        .size:           8
        .value_kind:     global_buffer
      - .offset:         128
        .size:           8
        .value_kind:     by_value
      - .address_space:  global
        .offset:         136
        .size:           8
        .value_kind:     global_buffer
      - .address_space:  global
        .offset:         144
        .size:           8
        .value_kind:     global_buffer
      - .address_space:  global
        .offset:         152
        .size:           8
        .value_kind:     global_buffer
      - .offset:         160
        .size:           4
        .value_kind:     by_value
      - .offset:         164
        .size:           4
        .value_kind:     by_value
    .group_segment_fixed_size: 8
    .kernarg_segment_align: 8
    .kernarg_segment_size: 168
    .language:       OpenCL C
    .language_version:
      - 2
      - 0
    .max_flat_workgroup_size: 256
    .name:           _ZN9rocsolver6v33100L12stein_kernelIffPfEEviPT0_lS4_lPiS4_lS5_lS5_lT1_iilS5_lS5_S4_S5_S3_S3_
    .private_segment_fixed_size: 0
    .sgpr_count:     107
    .sgpr_spill_count: 8
    .symbol:         _ZN9rocsolver6v33100L12stein_kernelIffPfEEviPT0_lS4_lPiS4_lS5_lS5_lT1_iilS5_lS5_S4_S5_S3_S3_.kd
    .uniform_work_group_size: 1
    .uses_dynamic_stack: false
    .vgpr_count:     45
    .vgpr_spill_count: 0
    .wavefront_size: 32
  - .args:
      - .offset:         0
        .size:           4
        .value_kind:     by_value
      - .address_space:  global
        .offset:         8
        .size:           8
        .value_kind:     global_buffer
      - .offset:         16
        .size:           8
        .value_kind:     by_value
      - .address_space:  global
        .offset:         24
        .size:           8
        .value_kind:     global_buffer
      - .offset:         32
        .size:           8
        .value_kind:     by_value
      - .address_space:  global
        .offset:         40
        .size:           8
        .value_kind:     global_buffer
      - .address_space:  global
        .offset:         48
        .size:           8
        .value_kind:     global_buffer
      - .offset:         56
        .size:           8
        .value_kind:     by_value
      - .address_space:  global
        .offset:         64
        .size:           8
        .value_kind:     global_buffer
      - .offset:         72
        .size:           8
        .value_kind:     by_value
      - .address_space:  global
        .offset:         80
        .size:           8
        .value_kind:     global_buffer
      - .offset:         88
        .size:           8
        .value_kind:     by_value
      - .address_space:  global
        .offset:         96
        .size:           8
        .value_kind:     global_buffer
      - .offset:         104
        .size:           4
        .value_kind:     by_value
      - .offset:         108
        .size:           4
        .value_kind:     by_value
      - .offset:         112
        .size:           8
        .value_kind:     by_value
      - .address_space:  global
        .offset:         120
        .size:           8
        .value_kind:     global_buffer
      - .offset:         128
        .size:           8
        .value_kind:     by_value
      - .address_space:  global
        .offset:         136
        .size:           8
        .value_kind:     global_buffer
      - .address_space:  global
        .offset:         144
        .size:           8
        .value_kind:     global_buffer
      - .address_space:  global
        .offset:         152
        .size:           8
        .value_kind:     global_buffer
      - .offset:         160
        .size:           8
        .value_kind:     by_value
      - .offset:         168
        .size:           8
        .value_kind:     by_value
    .group_segment_fixed_size: 8
    .kernarg_segment_align: 8
    .kernarg_segment_size: 176
    .language:       OpenCL C
    .language_version:
      - 2
      - 0
    .max_flat_workgroup_size: 256
    .name:           _ZN9rocsolver6v33100L12stein_kernelIddPdEEviPT0_lS4_lPiS4_lS5_lS5_lT1_iilS5_lS5_S4_S5_S3_S3_
    .private_segment_fixed_size: 0
    .sgpr_count:     107
    .sgpr_spill_count: 14
    .symbol:         _ZN9rocsolver6v33100L12stein_kernelIddPdEEviPT0_lS4_lPiS4_lS5_lS5_lT1_iilS5_lS5_S4_S5_S3_S3_.kd
    .uniform_work_group_size: 1
    .uses_dynamic_stack: false
    .vgpr_count:     63
    .vgpr_spill_count: 0
    .wavefront_size: 32
  - .args:
      - .offset:         0
        .size:           4
        .value_kind:     by_value
      - .address_space:  global
        .offset:         8
        .size:           8
        .value_kind:     global_buffer
      - .offset:         16
        .size:           8
        .value_kind:     by_value
      - .address_space:  global
        .offset:         24
        .size:           8
        .value_kind:     global_buffer
      - .offset:         32
        .size:           8
        .value_kind:     by_value
      - .address_space:  global
        .offset:         40
        .size:           8
        .value_kind:     global_buffer
      - .address_space:  global
        .offset:         48
        .size:           8
        .value_kind:     global_buffer
      - .offset:         56
        .size:           8
        .value_kind:     by_value
      - .address_space:  global
        .offset:         64
        .size:           8
        .value_kind:     global_buffer
      - .offset:         72
        .size:           8
        .value_kind:     by_value
      - .address_space:  global
        .offset:         80
        .size:           8
        .value_kind:     global_buffer
      - .offset:         88
        .size:           8
        .value_kind:     by_value
      - .address_space:  global
        .offset:         96
        .size:           8
        .value_kind:     global_buffer
      - .offset:         104
        .size:           4
        .value_kind:     by_value
      - .offset:         108
        .size:           4
        .value_kind:     by_value
      - .offset:         112
        .size:           8
        .value_kind:     by_value
      - .address_space:  global
        .offset:         120
        .size:           8
        .value_kind:     global_buffer
      - .offset:         128
        .size:           8
        .value_kind:     by_value
      - .address_space:  global
        .offset:         136
        .size:           8
        .value_kind:     global_buffer
      - .address_space:  global
        .offset:         144
        .size:           8
        .value_kind:     global_buffer
      - .address_space:  global
        .offset:         152
        .size:           8
        .value_kind:     global_buffer
      - .offset:         160
        .size:           4
        .value_kind:     by_value
      - .offset:         164
        .size:           4
        .value_kind:     by_value
    .group_segment_fixed_size: 8
    .kernarg_segment_align: 8
    .kernarg_segment_size: 168
    .language:       OpenCL C
    .language_version:
      - 2
      - 0
    .max_flat_workgroup_size: 256
    .name:           _ZN9rocsolver6v33100L12stein_kernelI19rocblas_complex_numIfEfPS3_EEviPT0_lS6_lPiS6_lS7_lS7_lT1_iilS7_lS7_S6_S7_S5_S5_
    .private_segment_fixed_size: 0
    .sgpr_count:     107
    .sgpr_spill_count: 8
    .symbol:         _ZN9rocsolver6v33100L12stein_kernelI19rocblas_complex_numIfEfPS3_EEviPT0_lS6_lPiS6_lS7_lS7_lT1_iilS7_lS7_S6_S7_S5_S5_.kd
    .uniform_work_group_size: 1
    .uses_dynamic_stack: false
    .vgpr_count:     45
    .vgpr_spill_count: 0
    .wavefront_size: 32
  - .args:
      - .offset:         0
        .size:           4
        .value_kind:     by_value
      - .address_space:  global
        .offset:         8
        .size:           8
        .value_kind:     global_buffer
      - .offset:         16
        .size:           8
        .value_kind:     by_value
      - .address_space:  global
        .offset:         24
        .size:           8
        .value_kind:     global_buffer
      - .offset:         32
        .size:           8
        .value_kind:     by_value
      - .address_space:  global
        .offset:         40
        .size:           8
        .value_kind:     global_buffer
      - .address_space:  global
        .offset:         48
        .size:           8
        .value_kind:     global_buffer
      - .offset:         56
        .size:           8
        .value_kind:     by_value
      - .address_space:  global
        .offset:         64
        .size:           8
        .value_kind:     global_buffer
      - .offset:         72
        .size:           8
        .value_kind:     by_value
      - .address_space:  global
        .offset:         80
        .size:           8
        .value_kind:     global_buffer
      - .offset:         88
        .size:           8
        .value_kind:     by_value
      - .address_space:  global
        .offset:         96
        .size:           8
        .value_kind:     global_buffer
      - .offset:         104
        .size:           4
        .value_kind:     by_value
      - .offset:         108
        .size:           4
        .value_kind:     by_value
      - .offset:         112
        .size:           8
        .value_kind:     by_value
      - .address_space:  global
        .offset:         120
        .size:           8
        .value_kind:     global_buffer
      - .offset:         128
        .size:           8
        .value_kind:     by_value
      - .address_space:  global
        .offset:         136
        .size:           8
        .value_kind:     global_buffer
      - .address_space:  global
        .offset:         144
        .size:           8
        .value_kind:     global_buffer
      - .address_space:  global
        .offset:         152
        .size:           8
        .value_kind:     global_buffer
      - .offset:         160
        .size:           8
        .value_kind:     by_value
      - .offset:         168
        .size:           8
        .value_kind:     by_value
    .group_segment_fixed_size: 8
    .kernarg_segment_align: 8
    .kernarg_segment_size: 176
    .language:       OpenCL C
    .language_version:
      - 2
      - 0
    .max_flat_workgroup_size: 256
    .name:           _ZN9rocsolver6v33100L12stein_kernelI19rocblas_complex_numIdEdPS3_EEviPT0_lS6_lPiS6_lS7_lS7_lT1_iilS7_lS7_S6_S7_S5_S5_
    .private_segment_fixed_size: 0
    .sgpr_count:     107
    .sgpr_spill_count: 14
    .symbol:         _ZN9rocsolver6v33100L12stein_kernelI19rocblas_complex_numIdEdPS3_EEviPT0_lS6_lPiS6_lS7_lS7_lT1_iilS7_lS7_S6_S7_S5_S5_.kd
    .uniform_work_group_size: 1
    .uses_dynamic_stack: false
    .vgpr_count:     64
    .vgpr_spill_count: 0
    .wavefront_size: 32
amdhsa.target:   amdgcn-amd-amdhsa--gfx1250
amdhsa.version:
  - 1
  - 2
...

	.end_amdgpu_metadata
